;; amdgpu-corpus repo=ROCm/rocFFT kind=compiled arch=gfx1030 opt=O3
	.text
	.amdgcn_target "amdgcn-amd-amdhsa--gfx1030"
	.amdhsa_code_object_version 6
	.protected	fft_rtc_back_len3840_factors_10_6_2_2_2_2_2_2_wgs_128_tpt_128_halfLds_dp_op_CI_CI_unitstride_sbrr_R2C_dirReg ; -- Begin function fft_rtc_back_len3840_factors_10_6_2_2_2_2_2_2_wgs_128_tpt_128_halfLds_dp_op_CI_CI_unitstride_sbrr_R2C_dirReg
	.globl	fft_rtc_back_len3840_factors_10_6_2_2_2_2_2_2_wgs_128_tpt_128_halfLds_dp_op_CI_CI_unitstride_sbrr_R2C_dirReg
	.p2align	8
	.type	fft_rtc_back_len3840_factors_10_6_2_2_2_2_2_2_wgs_128_tpt_128_halfLds_dp_op_CI_CI_unitstride_sbrr_R2C_dirReg,@function
fft_rtc_back_len3840_factors_10_6_2_2_2_2_2_2_wgs_128_tpt_128_halfLds_dp_op_CI_CI_unitstride_sbrr_R2C_dirReg: ; @fft_rtc_back_len3840_factors_10_6_2_2_2_2_2_2_wgs_128_tpt_128_halfLds_dp_op_CI_CI_unitstride_sbrr_R2C_dirReg
; %bb.0:
	s_clause 0x2
	s_load_dwordx4 s[12:15], s[4:5], 0x0
	s_load_dwordx4 s[8:11], s[4:5], 0x58
	;; [unrolled: 1-line block ×3, first 2 shown]
	v_mov_b32_e32 v4, 0
	v_mov_b32_e32 v2, 0
	v_mov_b32_e32 v6, s6
	v_mov_b32_e32 v3, 0
	v_mov_b32_e32 v7, v4
	s_waitcnt lgkmcnt(0)
	v_cmp_lt_u64_e64 s0, s[14:15], 2
	s_and_b32 vcc_lo, exec_lo, s0
	s_cbranch_vccnz .LBB0_8
; %bb.1:
	s_load_dwordx2 s[0:1], s[4:5], 0x10
	v_mov_b32_e32 v2, 0
	v_mov_b32_e32 v3, 0
	s_add_u32 s2, s18, 8
	s_addc_u32 s3, s19, 0
	s_add_u32 s6, s16, 8
	s_addc_u32 s7, s17, 0
	v_mov_b32_e32 v75, v3
	v_mov_b32_e32 v74, v2
	s_mov_b64 s[22:23], 1
	s_waitcnt lgkmcnt(0)
	s_add_u32 s20, s0, 8
	s_addc_u32 s21, s1, 0
.LBB0_2:                                ; =>This Inner Loop Header: Depth=1
	s_load_dwordx2 s[24:25], s[20:21], 0x0
                                        ; implicit-def: $vgpr76_vgpr77
	s_mov_b32 s0, exec_lo
	s_waitcnt lgkmcnt(0)
	v_or_b32_e32 v5, s25, v7
	v_cmpx_ne_u64_e32 0, v[4:5]
	s_xor_b32 s1, exec_lo, s0
	s_cbranch_execz .LBB0_4
; %bb.3:                                ;   in Loop: Header=BB0_2 Depth=1
	v_cvt_f32_u32_e32 v1, s24
	v_cvt_f32_u32_e32 v5, s25
	s_sub_u32 s0, 0, s24
	s_subb_u32 s26, 0, s25
	v_fmac_f32_e32 v1, 0x4f800000, v5
	v_rcp_f32_e32 v1, v1
	v_mul_f32_e32 v1, 0x5f7ffffc, v1
	v_mul_f32_e32 v5, 0x2f800000, v1
	v_trunc_f32_e32 v5, v5
	v_fmac_f32_e32 v1, 0xcf800000, v5
	v_cvt_u32_f32_e32 v5, v5
	v_cvt_u32_f32_e32 v1, v1
	v_mul_lo_u32 v8, s0, v5
	v_mul_hi_u32 v9, s0, v1
	v_mul_lo_u32 v10, s26, v1
	v_add_nc_u32_e32 v8, v9, v8
	v_mul_lo_u32 v9, s0, v1
	v_add_nc_u32_e32 v8, v8, v10
	v_mul_hi_u32 v10, v1, v9
	v_mul_lo_u32 v11, v1, v8
	v_mul_hi_u32 v12, v1, v8
	v_mul_hi_u32 v13, v5, v9
	v_mul_lo_u32 v9, v5, v9
	v_mul_hi_u32 v14, v5, v8
	v_mul_lo_u32 v8, v5, v8
	v_add_co_u32 v10, vcc_lo, v10, v11
	v_add_co_ci_u32_e32 v11, vcc_lo, 0, v12, vcc_lo
	v_add_co_u32 v9, vcc_lo, v10, v9
	v_add_co_ci_u32_e32 v9, vcc_lo, v11, v13, vcc_lo
	v_add_co_ci_u32_e32 v10, vcc_lo, 0, v14, vcc_lo
	v_add_co_u32 v8, vcc_lo, v9, v8
	v_add_co_ci_u32_e32 v9, vcc_lo, 0, v10, vcc_lo
	v_add_co_u32 v1, vcc_lo, v1, v8
	v_add_co_ci_u32_e32 v5, vcc_lo, v5, v9, vcc_lo
	v_mul_hi_u32 v8, s0, v1
	v_mul_lo_u32 v10, s26, v1
	v_mul_lo_u32 v9, s0, v5
	v_add_nc_u32_e32 v8, v8, v9
	v_mul_lo_u32 v9, s0, v1
	v_add_nc_u32_e32 v8, v8, v10
	v_mul_hi_u32 v10, v1, v9
	v_mul_lo_u32 v11, v1, v8
	v_mul_hi_u32 v12, v1, v8
	v_mul_hi_u32 v13, v5, v9
	v_mul_lo_u32 v9, v5, v9
	v_mul_hi_u32 v14, v5, v8
	v_mul_lo_u32 v8, v5, v8
	v_add_co_u32 v10, vcc_lo, v10, v11
	v_add_co_ci_u32_e32 v11, vcc_lo, 0, v12, vcc_lo
	v_add_co_u32 v9, vcc_lo, v10, v9
	v_add_co_ci_u32_e32 v9, vcc_lo, v11, v13, vcc_lo
	v_add_co_ci_u32_e32 v10, vcc_lo, 0, v14, vcc_lo
	v_add_co_u32 v8, vcc_lo, v9, v8
	v_add_co_ci_u32_e32 v9, vcc_lo, 0, v10, vcc_lo
	v_add_co_u32 v1, vcc_lo, v1, v8
	v_add_co_ci_u32_e32 v5, vcc_lo, v5, v9, vcc_lo
	v_mul_hi_u32 v14, v6, v1
	v_mad_u64_u32 v[10:11], null, v7, v1, 0
	v_mad_u64_u32 v[8:9], null, v6, v5, 0
	;; [unrolled: 1-line block ×3, first 2 shown]
	v_add_co_u32 v1, vcc_lo, v14, v8
	v_add_co_ci_u32_e32 v5, vcc_lo, 0, v9, vcc_lo
	v_add_co_u32 v1, vcc_lo, v1, v10
	v_add_co_ci_u32_e32 v1, vcc_lo, v5, v11, vcc_lo
	v_add_co_ci_u32_e32 v5, vcc_lo, 0, v13, vcc_lo
	v_add_co_u32 v1, vcc_lo, v1, v12
	v_add_co_ci_u32_e32 v5, vcc_lo, 0, v5, vcc_lo
	v_mul_lo_u32 v10, s25, v1
	v_mad_u64_u32 v[8:9], null, s24, v1, 0
	v_mul_lo_u32 v11, s24, v5
	v_sub_co_u32 v8, vcc_lo, v6, v8
	v_add3_u32 v9, v9, v11, v10
	v_sub_nc_u32_e32 v10, v7, v9
	v_subrev_co_ci_u32_e64 v10, s0, s25, v10, vcc_lo
	v_add_co_u32 v11, s0, v1, 2
	v_add_co_ci_u32_e64 v12, s0, 0, v5, s0
	v_sub_co_u32 v13, s0, v8, s24
	v_sub_co_ci_u32_e32 v9, vcc_lo, v7, v9, vcc_lo
	v_subrev_co_ci_u32_e64 v10, s0, 0, v10, s0
	v_cmp_le_u32_e32 vcc_lo, s24, v13
	v_cmp_eq_u32_e64 s0, s25, v9
	v_cndmask_b32_e64 v13, 0, -1, vcc_lo
	v_cmp_le_u32_e32 vcc_lo, s25, v10
	v_cndmask_b32_e64 v14, 0, -1, vcc_lo
	v_cmp_le_u32_e32 vcc_lo, s24, v8
	;; [unrolled: 2-line block ×3, first 2 shown]
	v_cndmask_b32_e64 v15, 0, -1, vcc_lo
	v_cmp_eq_u32_e32 vcc_lo, s25, v10
	v_cndmask_b32_e64 v8, v15, v8, s0
	v_cndmask_b32_e32 v10, v14, v13, vcc_lo
	v_add_co_u32 v13, vcc_lo, v1, 1
	v_add_co_ci_u32_e32 v14, vcc_lo, 0, v5, vcc_lo
	v_cmp_ne_u32_e32 vcc_lo, 0, v10
	v_cndmask_b32_e32 v9, v14, v12, vcc_lo
	v_cndmask_b32_e32 v10, v13, v11, vcc_lo
	v_cmp_ne_u32_e32 vcc_lo, 0, v8
	v_cndmask_b32_e32 v77, v5, v9, vcc_lo
	v_cndmask_b32_e32 v76, v1, v10, vcc_lo
.LBB0_4:                                ;   in Loop: Header=BB0_2 Depth=1
	s_andn2_saveexec_b32 s0, s1
	s_cbranch_execz .LBB0_6
; %bb.5:                                ;   in Loop: Header=BB0_2 Depth=1
	v_cvt_f32_u32_e32 v1, s24
	s_sub_i32 s1, 0, s24
	v_mov_b32_e32 v77, v4
	v_rcp_iflag_f32_e32 v1, v1
	v_mul_f32_e32 v1, 0x4f7ffffe, v1
	v_cvt_u32_f32_e32 v1, v1
	v_mul_lo_u32 v5, s1, v1
	v_mul_hi_u32 v5, v1, v5
	v_add_nc_u32_e32 v1, v1, v5
	v_mul_hi_u32 v1, v6, v1
	v_mul_lo_u32 v5, v1, s24
	v_add_nc_u32_e32 v8, 1, v1
	v_sub_nc_u32_e32 v5, v6, v5
	v_subrev_nc_u32_e32 v9, s24, v5
	v_cmp_le_u32_e32 vcc_lo, s24, v5
	v_cndmask_b32_e32 v5, v5, v9, vcc_lo
	v_cndmask_b32_e32 v1, v1, v8, vcc_lo
	v_cmp_le_u32_e32 vcc_lo, s24, v5
	v_add_nc_u32_e32 v8, 1, v1
	v_cndmask_b32_e32 v76, v1, v8, vcc_lo
.LBB0_6:                                ;   in Loop: Header=BB0_2 Depth=1
	s_or_b32 exec_lo, exec_lo, s0
	v_mul_lo_u32 v1, v77, s24
	v_mul_lo_u32 v5, v76, s25
	s_load_dwordx2 s[0:1], s[6:7], 0x0
	v_mad_u64_u32 v[8:9], null, v76, s24, 0
	s_load_dwordx2 s[24:25], s[2:3], 0x0
	s_add_u32 s22, s22, 1
	s_addc_u32 s23, s23, 0
	s_add_u32 s2, s2, 8
	s_addc_u32 s3, s3, 0
	s_add_u32 s6, s6, 8
	v_add3_u32 v1, v9, v5, v1
	v_sub_co_u32 v5, vcc_lo, v6, v8
	s_addc_u32 s7, s7, 0
	s_add_u32 s20, s20, 8
	v_sub_co_ci_u32_e32 v1, vcc_lo, v7, v1, vcc_lo
	s_addc_u32 s21, s21, 0
	s_waitcnt lgkmcnt(0)
	v_mul_lo_u32 v6, s0, v1
	v_mul_lo_u32 v7, s1, v5
	v_mad_u64_u32 v[2:3], null, s0, v5, v[2:3]
	v_mul_lo_u32 v1, s24, v1
	v_mul_lo_u32 v8, s25, v5
	v_mad_u64_u32 v[74:75], null, s24, v5, v[74:75]
	v_cmp_ge_u64_e64 s0, s[22:23], s[14:15]
	v_add3_u32 v3, v7, v3, v6
	v_add3_u32 v75, v8, v75, v1
	s_and_b32 vcc_lo, exec_lo, s0
	s_cbranch_vccnz .LBB0_9
; %bb.7:                                ;   in Loop: Header=BB0_2 Depth=1
	v_mov_b32_e32 v6, v76
	v_mov_b32_e32 v7, v77
	s_branch .LBB0_2
.LBB0_8:
	v_mov_b32_e32 v75, v3
	v_mov_b32_e32 v77, v7
	;; [unrolled: 1-line block ×4, first 2 shown]
.LBB0_9:
	s_load_dwordx2 s[0:1], s[4:5], 0x28
	s_lshl_b64 s[4:5], s[14:15], 3
	v_or_b32_e32 v78, 0x80, v0
	v_or_b32_e32 v80, 0x100, v0
	;; [unrolled: 1-line block ×14, first 2 shown]
	s_add_u32 s2, s18, s4
	s_addc_u32 s3, s19, s5
	s_waitcnt lgkmcnt(0)
	v_cmp_gt_u64_e32 vcc_lo, s[0:1], v[76:77]
	v_cmp_le_u64_e64 s0, s[0:1], v[76:77]
	s_and_saveexec_b32 s1, s0
	s_xor_b32 s0, exec_lo, s1
	s_cbranch_execz .LBB0_11
; %bb.10:
	v_mov_b32_e32 v1, 0
	v_or_b32_e32 v78, 0x80, v0
	v_or_b32_e32 v80, 0x100, v0
	;; [unrolled: 1-line block ×14, first 2 shown]
	v_mov_b32_e32 v79, v1
	v_mov_b32_e32 v81, v1
	;; [unrolled: 1-line block ×14, first 2 shown]
                                        ; implicit-def: $vgpr2_vgpr3
.LBB0_11:
	s_andn2_saveexec_b32 s1, s0
	s_cbranch_execz .LBB0_13
; %bb.12:
	s_add_u32 s4, s16, s4
	s_addc_u32 s5, s17, s5
	v_lshlrev_b32_e32 v79, 4, v0
	s_load_dwordx2 s[4:5], s[4:5], 0x0
	v_lshlrev_b32_e32 v8, 4, v104
	v_lshlrev_b32_e32 v9, 4, v102
	;; [unrolled: 1-line block ×7, first 2 shown]
	v_or_b32_e32 v154, 0x7800, v79
	v_or_b32_e32 v60, 0x8800, v79
	;; [unrolled: 1-line block ×8, first 2 shown]
	v_add_nc_u32_e32 v156, 0, v79
	v_add_nc_u32_e32 v157, 0, v85
	s_waitcnt lgkmcnt(0)
	v_mul_lo_u32 v1, s5, v76
	v_mul_lo_u32 v6, s4, v77
	v_mad_u64_u32 v[4:5], null, s4, v76, 0
	v_add3_u32 v5, v5, v6, v1
	v_lshlrev_b64 v[1:2], 4, v[2:3]
	v_lshlrev_b32_e32 v6, 4, v78
	v_lshlrev_b64 v[3:4], 4, v[4:5]
	v_lshlrev_b32_e32 v5, 4, v80
	v_add_co_u32 v3, s0, s8, v3
	v_add_co_ci_u32_e64 v4, s0, s9, v4, s0
	v_add_co_u32 v81, s0, v3, v1
	v_add_co_ci_u32_e64 v83, s0, v4, v2, s0
	;; [unrolled: 2-line block ×8, first 2 shown]
	v_add_co_u32 v26, s0, v81, v26
	s_clause 0x5
	global_load_dwordx4 v[2:5], v[1:2], off
	global_load_dwordx4 v[6:9], v[6:7], off
	;; [unrolled: 1-line block ×6, first 2 shown]
	v_lshlrev_b32_e32 v1, 4, v94
	v_add_co_ci_u32_e64 v27, s0, 0, v83, s0
	v_add_co_u32 v30, s0, v81, v85
	v_add_co_ci_u32_e64 v31, s0, 0, v83, s0
	v_add_co_u32 v34, s0, v81, v1
	v_lshlrev_b32_e32 v1, 4, v90
	v_add_co_ci_u32_e64 v35, s0, 0, v83, s0
	v_add_co_u32 v38, s0, v81, v28
	v_add_co_ci_u32_e64 v39, s0, 0, v83, s0
	v_add_co_u32 v42, s0, v81, v1
	v_lshlrev_b32_e32 v1, 4, v86
	v_add_co_ci_u32_e64 v43, s0, 0, v83, s0
	v_add_co_u32 v46, s0, v81, v44
	v_lshlrev_b32_e32 v44, 4, v84
	;; [unrolled: 3-line block ×3, first 2 shown]
	v_add_co_ci_u32_e64 v51, s0, 0, v83, s0
	v_add_co_u32 v54, s0, v81, v44
	v_add_co_ci_u32_e64 v55, s0, 0, v83, s0
	v_add_co_u32 v58, s0, v81, v1
	v_or_b32_e32 v1, 0x8000, v79
	v_add_co_ci_u32_e64 v59, s0, 0, v83, s0
	v_add_co_u32 v62, s0, v81, v154
	v_add_co_ci_u32_e64 v63, s0, 0, v83, s0
	v_add_co_u32 v66, s0, v81, v1
	v_or_b32_e32 v1, 0x9000, v79
	;; [unrolled: 5-line block ×3, first 2 shown]
	v_add_co_ci_u32_e64 v106, s0, 0, v83, s0
	v_add_co_u32 v110, s0, v81, v87
	v_or_b32_e32 v87, 0xa800, v79
	v_add_co_ci_u32_e64 v111, s0, 0, v83, s0
	v_add_co_u32 v114, s0, v81, v1
	v_or_b32_e32 v1, 0xb000, v79
	v_add_co_ci_u32_e64 v115, s0, 0, v83, s0
	v_add_co_u32 v118, s0, v81, v87
	v_add_co_ci_u32_e64 v119, s0, 0, v83, s0
	v_add_co_u32 v122, s0, v81, v1
	v_or_b32_e32 v1, 0xc000, v79
	v_add_co_ci_u32_e64 v123, s0, 0, v83, s0
	v_add_co_u32 v126, s0, v81, v155
	v_or_b32_e32 v87, 0xc800, v79
	v_add_co_ci_u32_e64 v127, s0, 0, v83, s0
	v_add_co_u32 v130, s0, v81, v1
	v_add_co_ci_u32_e64 v131, s0, 0, v83, s0
	v_add_co_u32 v134, s0, v81, v87
	;; [unrolled: 2-line block ×6, first 2 shown]
	v_add_co_ci_u32_e64 v151, s0, 0, v83, s0
	s_clause 0x17
	global_load_dwordx4 v[26:29], v[26:27], off
	global_load_dwordx4 v[30:33], v[30:31], off
	;; [unrolled: 1-line block ×24, first 2 shown]
	v_mov_b32_e32 v1, 0
	v_add_nc_u32_e32 v154, 0, v154
	v_add_nc_u32_e32 v155, 0, v155
	s_waitcnt vmcnt(29)
	ds_write_b128 v156, v[2:5]
	s_waitcnt vmcnt(28)
	ds_write_b128 v156, v[6:9] offset:2048
	s_waitcnt vmcnt(27)
	ds_write_b128 v156, v[10:13] offset:4096
	s_waitcnt vmcnt(26)
	ds_write_b128 v156, v[14:17] offset:6144
	s_waitcnt vmcnt(25)
	ds_write_b128 v156, v[18:21] offset:8192
	s_waitcnt vmcnt(24)
	ds_write_b128 v156, v[22:25] offset:10240
	s_waitcnt vmcnt(23)
	ds_write_b128 v156, v[26:29] offset:12288
	s_waitcnt vmcnt(22)
	ds_write_b128 v157, v[30:33]
	s_waitcnt vmcnt(21)
	ds_write_b128 v156, v[34:37] offset:16384
	s_waitcnt vmcnt(20)
	ds_write_b128 v156, v[38:41] offset:18432
	s_waitcnt vmcnt(19)
	ds_write_b128 v156, v[42:45] offset:20480
	s_waitcnt vmcnt(18)
	ds_write_b128 v156, v[46:49] offset:22528
	s_waitcnt vmcnt(17)
	ds_write_b128 v156, v[50:53] offset:24576
	s_waitcnt vmcnt(16)
	ds_write_b128 v156, v[54:57] offset:26624
	s_waitcnt vmcnt(15)
	ds_write_b128 v156, v[58:61] offset:28672
	s_waitcnt vmcnt(14)
	ds_write_b128 v154, v[62:65]
	s_waitcnt vmcnt(13)
	ds_write_b128 v156, v[66:69] offset:32768
	;; [unrolled: 16-line block ×3, first 2 shown]
	s_waitcnt vmcnt(4)
	ds_write_b128 v156, v[134:137] offset:51200
	s_waitcnt vmcnt(3)
	ds_write_b128 v156, v[138:141] offset:53248
	;; [unrolled: 2-line block ×5, first 2 shown]
	v_mov_b32_e32 v79, v1
	v_mov_b32_e32 v81, v1
	;; [unrolled: 1-line block ×14, first 2 shown]
.LBB0_13:
	s_or_b32 exec_lo, exec_lo, s1
	v_lshlrev_b32_e32 v133, 4, v0
	s_load_dwordx2 s[2:3], s[2:3], 0x0
	s_waitcnt lgkmcnt(0)
	s_barrier
	buffer_gl0_inv
	v_add_nc_u32_e32 v132, 0, v133
	s_mov_b32 s14, 0x134454ff
	s_mov_b32 s15, 0xbfee6f0e
	s_mov_b32 s7, 0x3fee6f0e
	s_mov_b32 s6, s14
	ds_read_b128 v[50:53], v132 offset:30720
	ds_read_b128 v[46:49], v132 offset:43008
	;; [unrolled: 1-line block ×10, first 2 shown]
	ds_read_b128 v[106:109], v132
	ds_read_b128 v[110:113], v132 offset:24576
	ds_read_b128 v[70:73], v132 offset:36864
	;; [unrolled: 1-line block ×11, first 2 shown]
	s_mov_b32 s8, 0x4755a5e
	s_mov_b32 s9, 0xbfe2cf23
	;; [unrolled: 1-line block ×12, first 2 shown]
	s_waitcnt lgkmcnt(20)
	v_add_f64 v[122:123], v[52:53], v[48:49]
	v_add_f64 v[124:125], v[50:51], v[46:47]
	s_waitcnt lgkmcnt(18)
	v_add_f64 v[126:127], v[56:57], v[44:45]
	v_add_f64 v[128:129], v[56:57], -v[44:45]
	v_add_f64 v[130:131], v[54:55], -v[42:43]
	;; [unrolled: 1-line block ×3, first 2 shown]
	v_add_f64 v[136:137], v[54:55], v[42:43]
	s_waitcnt lgkmcnt(9)
	v_add_f64 v[142:143], v[110:111], v[70:71]
	v_add_f64 v[150:151], v[112:113], v[72:73]
	s_waitcnt lgkmcnt(4)
	v_add_f64 v[156:157], v[62:63], v[66:67]
	v_add_f64 v[158:159], v[64:65], v[68:69]
	v_add_f64 v[160:161], v[52:53], -v[48:49]
	v_add_f64 v[162:163], v[54:55], -v[50:51]
	;; [unrolled: 1-line block ×7, first 2 shown]
	v_add_f64 v[56:57], v[60:61], v[56:57]
	v_add_f64 v[138:139], v[106:107], v[62:63]
	;; [unrolled: 1-line block ×3, first 2 shown]
	v_add_f64 v[144:145], v[112:113], -v[72:73]
	v_fma_f64 v[122:123], v[122:123], -0.5, v[60:61]
	v_fma_f64 v[124:125], v[124:125], -0.5, v[58:59]
	;; [unrolled: 1-line block ×3, first 2 shown]
	v_add_f64 v[146:147], v[62:63], -v[110:111]
	v_add_f64 v[148:149], v[110:111], -v[62:63]
	;; [unrolled: 1-line block ×3, first 2 shown]
	v_fma_f64 v[136:137], v[136:137], -0.5, v[58:59]
	v_add_f64 v[58:59], v[58:59], v[54:55]
	v_add_f64 v[154:155], v[64:65], -v[112:113]
	v_add_f64 v[174:175], v[112:113], -v[64:65]
	;; [unrolled: 1-line block ×8, first 2 shown]
	v_fma_f64 v[142:143], v[142:143], -0.5, v[106:107]
	v_fma_f64 v[106:107], v[156:157], -0.5, v[106:107]
	;; [unrolled: 1-line block ×4, first 2 shown]
	v_add_f64 v[156:157], v[162:163], v[168:169]
	v_add_f64 v[158:159], v[164:165], v[170:171]
	v_fma_f64 v[176:177], v[130:131], s[6:7], v[122:123]
	v_fma_f64 v[178:179], v[128:129], s[14:15], v[124:125]
	;; [unrolled: 1-line block ×5, first 2 shown]
	v_add_f64 v[162:163], v[166:167], v[172:173]
	v_fma_f64 v[168:169], v[160:161], s[6:7], v[136:137]
	v_fma_f64 v[136:137], v[160:161], s[14:15], v[136:137]
	;; [unrolled: 1-line block ×3, first 2 shown]
	v_add_f64 v[50:51], v[58:59], v[50:51]
	v_add_f64 v[52:53], v[56:57], v[52:53]
	v_add_f64 v[186:187], v[70:71], -v[66:67]
	v_add_f64 v[172:173], v[72:73], -v[68:69]
	v_add_f64 v[110:111], v[138:139], v[110:111]
	v_add_f64 v[112:113], v[140:141], v[112:113]
	;; [unrolled: 1-line block ×5, first 2 shown]
	v_fma_f64 v[60:61], v[64:65], s[14:15], v[142:143]
	v_fma_f64 v[138:139], v[152:153], s[14:15], v[108:109]
	;; [unrolled: 1-line block ×16, first 2 shown]
	v_add_f64 v[46:47], v[50:51], v[46:47]
	v_add_f64 v[48:49], v[52:53], v[48:49]
	;; [unrolled: 1-line block ×6, first 2 shown]
	v_fma_f64 v[50:51], v[144:145], s[8:9], v[60:61]
	v_fma_f64 v[110:111], v[62:63], s[4:5], v[138:139]
	;; [unrolled: 1-line block ×16, first 2 shown]
	v_add_f64 v[154:155], v[46:47], v[42:43]
	v_add_f64 v[156:157], v[48:49], v[44:45]
	ds_read_b128 v[42:45], v132 offset:32768
	ds_read_b128 v[46:49], v132 offset:57344
	v_add_f64 v[150:151], v[70:71], v[66:67]
	v_add_f64 v[152:153], v[72:73], v[68:69]
	v_fma_f64 v[158:159], v[56:57], s[0:1], v[50:51]
	s_waitcnt lgkmcnt(5)
	v_add_f64 v[198:199], v[30:31], v[22:23]
	v_fma_f64 v[168:169], v[136:137], s[0:1], v[62:63]
	v_fma_f64 v[174:175], v[56:57], s[0:1], v[138:139]
	v_mul_f64 v[106:107], v[140:141], s[8:9]
	v_mul_f64 v[108:109], v[146:147], s[4:5]
	;; [unrolled: 1-line block ×8, first 2 shown]
	v_fma_f64 v[160:161], v[58:59], s[0:1], v[52:53]
	v_fma_f64 v[162:163], v[148:149], s[0:1], v[60:61]
	;; [unrolled: 1-line block ×4, first 2 shown]
	s_waitcnt lgkmcnt(1)
	v_add_f64 v[182:183], v[44:45], v[116:117]
	s_waitcnt lgkmcnt(0)
	v_add_f64 v[186:187], v[120:121], v[48:49]
	v_fma_f64 v[178:179], v[58:59], s[0:1], v[144:145]
	ds_read_b128 v[58:61], v132 offset:34816
	ds_read_b128 v[62:65], v132 offset:47104
	;; [unrolled: 1-line block ×3, first 2 shown]
	v_add_f64 v[184:185], v[42:43], v[114:115]
	v_add_f64 v[66:67], v[150:151], v[154:155]
	v_add_f64 v[188:189], v[44:45], -v[116:117]
	v_add_f64 v[192:193], v[44:45], -v[120:121]
	;; [unrolled: 1-line block ×3, first 2 shown]
	v_fma_f64 v[146:147], v[146:147], s[16:17], v[106:107]
	v_fma_f64 v[140:141], v[140:141], s[16:17], v[108:109]
	;; [unrolled: 1-line block ×8, first 2 shown]
	v_add_f64 v[106:107], v[150:151], -v[154:155]
	v_add_f64 v[68:69], v[152:153], v[156:157]
	v_add_f64 v[108:109], v[152:153], -v[156:157]
	v_add_f64 v[200:201], v[32:33], v[24:25]
	v_add_f64 v[202:203], v[114:115], -v[46:47]
	v_add_f64 v[204:205], v[34:35], -v[26:27]
	ds_read_b128 v[70:73], v132 offset:22528
	ds_read_b128 v[54:57], v132 offset:59392
	;; [unrolled: 1-line block ×3, first 2 shown]
	s_waitcnt lgkmcnt(0)
	s_barrier
	buffer_gl0_inv
	v_add_f64 v[192:193], v[192:193], v[194:195]
	v_add_f64 v[110:111], v[158:159], v[146:147]
	;; [unrolled: 1-line block ×3, first 2 shown]
	v_add_f64 v[122:123], v[158:159], -v[146:147]
	v_add_f64 v[124:125], v[160:161], -v[140:141]
	v_add_f64 v[128:129], v[164:165], v[166:167]
	v_add_f64 v[136:137], v[164:165], -v[166:167]
	v_add_f64 v[138:139], v[148:149], v[170:171]
	v_add_f64 v[140:141], v[168:169], v[172:173]
	v_add_f64 v[146:147], v[148:149], -v[170:171]
	v_add_f64 v[148:149], v[168:169], -v[172:173]
	v_add_f64 v[164:165], v[118:119], v[46:47]
	v_add_f64 v[166:167], v[42:43], -v[114:115]
	v_fma_f64 v[168:169], v[186:187], -0.5, v[52:53]
	v_add_f64 v[126:127], v[162:163], v[130:131]
	v_add_f64 v[134:135], v[162:163], -v[130:131]
	v_add_f64 v[130:131], v[118:119], -v[46:47]
	v_fma_f64 v[158:159], v[182:183], -0.5, v[52:53]
	v_mul_u32_u24_e32 v182, 10, v0
	v_add_f64 v[160:161], v[120:121], -v[48:49]
	v_fma_f64 v[162:163], v[184:185], -0.5, v[50:51]
	v_add_f64 v[150:151], v[174:175], v[176:177]
	v_add_f64 v[170:171], v[38:39], v[30:31]
	;; [unrolled: 1-line block ×3, first 2 shown]
	v_add_f64 v[154:155], v[174:175], -v[176:177]
	v_add_f64 v[174:175], v[34:35], v[26:27]
	v_add_f64 v[152:153], v[178:179], v[180:181]
	v_add_f64 v[156:157], v[178:179], -v[180:181]
	v_lshl_add_u32 v212, v182, 4, 0
	v_add_f64 v[176:177], v[36:37], v[28:29]
	v_add_f64 v[178:179], v[118:119], -v[42:43]
	v_add_f64 v[180:181], v[120:121], -v[44:45]
	;; [unrolled: 1-line block ×3, first 2 shown]
	v_fma_f64 v[164:165], v[164:165], -0.5, v[50:51]
	v_add_f64 v[184:185], v[48:49], -v[116:117]
	v_fma_f64 v[196:197], v[166:167], s[14:15], v[168:169]
	v_add_f64 v[50:51], v[50:51], v[118:119]
	v_add_f64 v[52:53], v[52:53], v[120:121]
	v_fma_f64 v[168:169], v[166:167], s[6:7], v[168:169]
	v_fma_f64 v[186:187], v[130:131], s[6:7], v[158:159]
	v_add_f64 v[118:119], v[42:43], -v[118:119]
	ds_write_b128 v212, v[66:69]
	v_fma_f64 v[190:191], v[160:161], s[14:15], v[162:163]
	ds_write_b128 v212, v[110:113] offset:16
	v_add_f64 v[120:121], v[170:171], v[34:35]
	v_add_f64 v[170:171], v[172:173], v[36:37]
	v_add_f64 v[172:173], v[36:37], -v[28:29]
	v_fma_f64 v[174:175], v[174:175], -0.5, v[38:39]
	v_fma_f64 v[38:39], v[198:199], -0.5, v[38:39]
	v_add_f64 v[198:199], v[30:31], -v[34:35]
	ds_write_b128 v212, v[126:129] offset:32
	ds_write_b128 v212, v[138:141] offset:48
	v_fma_f64 v[176:177], v[176:177], -0.5, v[40:41]
	v_fma_f64 v[40:41], v[200:201], -0.5, v[40:41]
	v_add_f64 v[200:201], v[28:29], -v[24:25]
	v_add_f64 v[178:179], v[178:179], v[182:183]
	v_fma_f64 v[194:195], v[188:189], s[6:7], v[164:165]
	v_add_f64 v[180:181], v[180:181], v[184:185]
	v_fma_f64 v[196:197], v[130:131], s[4:5], v[196:197]
	v_add_f64 v[184:185], v[32:33], -v[24:25]
	v_add_f64 v[44:45], v[52:53], v[44:45]
	v_add_f64 v[52:53], v[32:33], -v[36:37]
	v_fma_f64 v[182:183], v[166:167], s[4:5], v[186:187]
	v_add_f64 v[118:119], v[118:119], v[202:203]
	v_add_f64 v[32:33], v[36:37], -v[32:33]
	v_fma_f64 v[186:187], v[188:189], s[8:9], v[190:191]
	v_add_f64 v[190:191], v[30:31], -v[22:23]
	v_add_f64 v[30:31], v[34:35], -v[30:31]
	v_add_f64 v[34:35], v[50:51], v[42:43]
	v_fma_f64 v[42:43], v[188:189], s[14:15], v[164:165]
	v_fma_f64 v[50:51], v[130:131], s[8:9], v[168:169]
	v_add_f64 v[164:165], v[26:27], -v[22:23]
	v_fma_f64 v[202:203], v[172:173], s[6:7], v[38:39]
	v_add_f64 v[36:37], v[22:23], -v[26:27]
	v_add_f64 v[168:169], v[24:25], -v[28:29]
	v_fma_f64 v[210:211], v[204:205], s[14:15], v[40:41]
	v_fma_f64 v[38:39], v[172:173], s[14:15], v[38:39]
	v_add_f64 v[26:27], v[120:121], v[26:27]
	v_fma_f64 v[194:195], v[160:161], s[8:9], v[194:195]
	v_add_f64 v[28:29], v[170:171], v[28:29]
	v_fma_f64 v[196:197], v[192:193], s[0:1], v[196:197]
	v_fma_f64 v[206:207], v[184:185], s[14:15], v[174:175]
	;; [unrolled: 1-line block ×3, first 2 shown]
	v_add_f64 v[44:45], v[44:45], v[116:117]
	v_fma_f64 v[182:183], v[180:181], s[0:1], v[182:183]
	ds_write_b128 v212, v[150:153] offset:64
	ds_write_b128 v212, v[106:109] offset:80
	v_add_f64 v[32:33], v[32:33], v[200:201]
	v_fma_f64 v[186:187], v[178:179], s[0:1], v[186:187]
	v_fma_f64 v[208:209], v[190:191], s[6:7], v[176:177]
	ds_write_b128 v212, v[122:125] offset:96
	ds_write_b128 v212, v[134:137] offset:112
	v_add_f64 v[34:35], v[34:35], v[114:115]
	v_fma_f64 v[42:43], v[160:161], s[4:5], v[42:43]
	v_fma_f64 v[50:51], v[192:193], s[0:1], v[50:51]
	v_add_f64 v[30:31], v[30:31], v[164:165]
	v_fma_f64 v[170:171], v[184:185], s[8:9], v[202:203]
	v_add_f64 v[66:67], v[198:199], v[36:37]
	v_add_f64 v[68:69], v[52:53], v[168:169]
	v_fma_f64 v[192:193], v[190:191], s[4:5], v[210:211]
	v_fma_f64 v[38:39], v[184:185], s[4:5], v[38:39]
	v_add_f64 v[22:23], v[26:27], v[22:23]
	v_fma_f64 v[120:121], v[118:119], s[0:1], v[194:195]
	v_add_f64 v[24:25], v[28:29], v[24:25]
	v_mul_f64 v[164:165], v[196:197], s[14:15]
	v_fma_f64 v[114:115], v[172:173], s[8:9], v[206:207]
	v_mul_f64 v[168:169], v[196:197], s[0:1]
	v_fma_f64 v[40:41], v[190:191], s[8:9], v[40:41]
	v_mul_f64 v[36:37], v[182:183], s[8:9]
	v_add_f64 v[28:29], v[44:45], v[48:49]
	v_add_f64 v[124:125], v[16:17], v[8:9]
	v_mul_f64 v[52:53], v[186:187], s[4:5]
	v_fma_f64 v[116:117], v[204:205], s[4:5], v[208:209]
	v_add_f64 v[126:127], v[60:61], v[64:65]
	v_add_f64 v[26:27], v[34:35], v[46:47]
	v_fma_f64 v[42:43], v[118:119], s[0:1], v[42:43]
	v_mul_f64 v[110:111], v[50:51], s[14:15]
	v_mul_f64 v[50:51], v[50:51], s[18:19]
	v_fma_f64 v[112:113], v[30:31], s[0:1], v[170:171]
	v_add_f64 v[128:129], v[58:59], v[62:63]
	v_add_f64 v[122:123], v[14:15], v[6:7]
	v_add_f64 v[138:139], v[58:59], -v[62:63]
	v_add_f64 v[140:141], v[70:71], v[54:55]
	v_fma_f64 v[136:137], v[160:161], s[6:7], v[162:163]
	ds_write_b128 v212, v[146:149] offset:128
	ds_write_b128 v212, v[154:157] offset:144
	v_add_f64 v[134:135], v[8:9], -v[20:21]
	v_fma_f64 v[106:107], v[120:121], s[0:1], v[164:165]
	v_fma_f64 v[48:49], v[66:67], s[0:1], v[114:115]
	;; [unrolled: 1-line block ×6, first 2 shown]
	v_add_f64 v[32:33], v[24:25], v[28:29]
	v_fma_f64 v[46:47], v[182:183], s[16:17], v[52:53]
	v_fma_f64 v[52:53], v[68:69], s[0:1], v[116:117]
	;; [unrolled: 1-line block ×3, first 2 shown]
	v_add_f64 v[30:31], v[22:23], v[26:27]
	v_add_f64 v[22:23], v[22:23], -v[26:27]
	v_fma_f64 v[110:111], v[42:43], s[18:19], v[110:111]
	v_fma_f64 v[120:121], v[42:43], s[6:7], v[50:51]
	v_fma_f64 v[126:127], v[126:127], -0.5, v[144:145]
	v_fma_f64 v[128:129], v[128:129], -0.5, v[142:143]
	v_add_f64 v[24:25], v[24:25], -v[28:29]
	v_add_f64 v[146:147], v[8:9], -v[4:5]
	v_add_f64 v[148:149], v[6:7], v[2:3]
	v_add_f64 v[150:151], v[142:143], v[70:71]
	v_add_f64 v[152:153], v[60:61], -v[64:65]
	v_add_f64 v[154:155], v[70:71], -v[58:59]
	v_add_f64 v[42:43], v[112:113], v[106:107]
	v_add_f64 v[38:39], v[112:113], -v[106:107]
	v_add_f64 v[106:107], v[72:73], v[56:57]
	;; [unrolled: 2-line block ×4, first 2 shown]
	v_fma_f64 v[108:109], v[130:131], s[14:15], v[158:159]
	v_add_f64 v[112:113], v[124:125], v[20:21]
	v_add_f64 v[124:125], v[72:73], -v[56:57]
	v_add_f64 v[130:131], v[70:71], -v[54:55]
	v_add_f64 v[36:37], v[52:53], v[46:47]
	v_add_f64 v[28:29], v[52:53], -v[46:47]
	v_add_f64 v[50:51], v[116:117], v[110:111]
	;; [unrolled: 2-line block ×3, first 2 shown]
	v_add_f64 v[114:115], v[18:19], v[10:11]
	v_add_f64 v[116:117], v[20:21], -v[12:13]
	v_add_f64 v[122:123], v[20:21], v[12:13]
	v_add_f64 v[20:21], v[20:21], -v[8:9]
	v_fma_f64 v[156:157], v[184:185], s[6:7], v[174:175]
	v_add_f64 v[158:159], v[72:73], -v[60:61]
	v_fma_f64 v[160:161], v[190:191], s[14:15], v[176:177]
	v_add_f64 v[162:163], v[54:55], -v[62:63]
	v_fma_f64 v[106:107], v[106:107], -0.5, v[144:145]
	v_add_f64 v[144:145], v[144:145], v[72:73]
	v_add_f64 v[164:165], v[56:57], -v[64:65]
	v_add_f64 v[8:9], v[8:9], v[4:5]
	v_add_f64 v[72:73], v[60:61], -v[72:73]
	v_fma_f64 v[108:109], v[166:167], s[8:9], v[108:109]
	v_add_f64 v[170:171], v[64:65], -v[56:57]
	v_fma_f64 v[168:169], v[124:125], s[14:15], v[128:129]
	v_fma_f64 v[166:167], v[130:131], s[6:7], v[126:127]
	v_fma_f64 v[140:141], v[140:141], -0.5, v[142:143]
	v_fma_f64 v[136:137], v[188:189], s[4:5], v[136:137]
	v_fma_f64 v[126:127], v[130:131], s[14:15], v[126:127]
	v_add_f64 v[52:53], v[118:119], v[120:121]
	v_add_f64 v[48:49], v[118:119], -v[120:121]
	v_add_f64 v[118:119], v[6:7], -v[18:19]
	;; [unrolled: 1-line block ×5, first 2 shown]
	v_add_f64 v[150:151], v[150:151], v[58:59]
	v_add_f64 v[58:59], v[58:59], -v[70:71]
	v_add_f64 v[70:71], v[62:63], -v[54:55]
	v_add_f64 v[154:155], v[154:155], v[162:163]
	v_fma_f64 v[142:143], v[138:139], s[14:15], v[106:107]
	v_fma_f64 v[106:107], v[138:139], s[6:7], v[106:107]
	v_add_f64 v[60:61], v[144:145], v[60:61]
	v_fma_f64 v[144:145], v[172:173], s[4:5], v[156:157]
	v_fma_f64 v[156:157], v[204:205], s[8:9], v[160:161]
	;; [unrolled: 1-line block ×3, first 2 shown]
	v_add_f64 v[158:159], v[158:159], v[164:165]
	v_fma_f64 v[162:163], v[152:153], s[8:9], v[168:169]
	v_fma_f64 v[160:161], v[138:139], s[4:5], v[166:167]
	v_fma_f64 v[114:115], v[114:115], -0.5, v[14:15]
	v_fma_f64 v[122:123], v[122:123], -0.5, v[16:17]
	v_add_f64 v[72:73], v[72:73], v[170:171]
	v_fma_f64 v[164:165], v[152:153], s[6:7], v[140:141]
	v_fma_f64 v[14:15], v[148:149], -0.5, v[14:15]
	v_fma_f64 v[8:9], v[8:9], -0.5, v[16:17]
	v_fma_f64 v[16:17], v[152:153], s[14:15], v[140:141]
	v_fma_f64 v[136:137], v[178:179], s[0:1], v[136:137]
	;; [unrolled: 1-line block ×4, first 2 shown]
	v_add_f64 v[110:111], v[110:111], v[10:11]
	v_add_f64 v[112:113], v[112:113], v[12:13]
	v_add_f64 v[174:175], v[2:3], -v[10:11]
	v_fma_f64 v[142:143], v[130:131], s[4:5], v[142:143]
	v_fma_f64 v[106:107], v[130:131], s[8:9], v[106:107]
	v_add_f64 v[10:11], v[10:11], -v[2:3]
	v_add_f64 v[130:131], v[4:5], -v[12:13]
	v_add_f64 v[12:13], v[12:13], -v[4:5]
	v_mul_f64 v[166:167], v[108:109], s[8:9]
	v_mul_f64 v[108:109], v[108:109], s[20:21]
	v_add_f64 v[62:63], v[150:151], v[62:63]
	v_add_f64 v[60:61], v[60:61], v[64:65]
	v_fma_f64 v[64:65], v[66:67], s[0:1], v[144:145]
	v_fma_f64 v[66:67], v[158:159], s[0:1], v[160:161]
	;; [unrolled: 1-line block ×6, first 2 shown]
	v_add_f64 v[58:59], v[58:59], v[70:71]
	v_fma_f64 v[70:71], v[124:125], s[8:9], v[164:165]
	v_fma_f64 v[150:151], v[116:117], s[6:7], v[14:15]
	;; [unrolled: 1-line block ×10, first 2 shown]
	v_add_f64 v[118:119], v[118:119], v[174:175]
	v_fma_f64 v[148:149], v[136:137], s[20:21], v[166:167]
	v_fma_f64 v[106:107], v[136:137], s[4:5], v[108:109]
	;; [unrolled: 1-line block ×4, first 2 shown]
	v_add_f64 v[126:127], v[134:135], v[130:131]
	v_mul_f64 v[128:129], v[66:67], s[8:9]
	v_mul_f64 v[130:131], v[138:139], s[4:5]
	v_fma_f64 v[134:135], v[116:117], s[8:9], v[140:141]
	v_fma_f64 v[136:137], v[18:19], s[4:5], v[144:145]
	v_add_f64 v[10:11], v[120:121], v[10:11]
	v_add_f64 v[12:13], v[20:21], v[12:13]
	v_fma_f64 v[20:21], v[58:59], s[0:1], v[70:71]
	v_fma_f64 v[140:141], v[146:147], s[8:9], v[150:151]
	v_add_f64 v[2:3], v[110:111], v[2:3]
	v_fma_f64 v[14:15], v[146:147], s[4:5], v[14:15]
	v_fma_f64 v[16:17], v[58:59], s[0:1], v[16:17]
	v_add_f64 v[4:5], v[112:113], v[4:5]
	v_mul_f64 v[70:71], v[142:143], s[14:15]
	v_mul_f64 v[120:121], v[142:143], s[0:1]
	v_fma_f64 v[142:143], v[6:7], s[4:5], v[156:157]
	v_mul_f64 v[58:59], v[72:73], s[14:15]
	v_fma_f64 v[6:7], v[6:7], s[8:9], v[8:9]
	;; [unrolled: 2-line block ×3, first 2 shown]
	v_fma_f64 v[72:73], v[116:117], s[4:5], v[108:109]
	v_fma_f64 v[108:109], v[154:155], s[0:1], v[114:115]
	v_mul_f64 v[114:115], v[124:125], s[8:9]
	v_mul_f64 v[110:111], v[124:125], s[20:21]
	v_add_f64 v[112:113], v[62:63], v[54:55]
	v_add_f64 v[116:117], v[60:61], v[56:57]
	v_fma_f64 v[122:123], v[138:139], s[16:17], v[128:129]
	v_fma_f64 v[124:125], v[66:67], s[16:17], v[130:131]
	;; [unrolled: 1-line block ×4, first 2 shown]
	v_add_f64 v[54:55], v[64:65], v[148:149]
	v_add_f64 v[56:57], v[68:69], v[106:107]
	v_fma_f64 v[14:15], v[10:11], s[0:1], v[14:15]
	v_add_f64 v[60:61], v[68:69], -v[106:107]
	v_fma_f64 v[134:135], v[20:21], s[0:1], v[70:71]
	v_fma_f64 v[20:21], v[20:21], s[6:7], v[120:121]
	;; [unrolled: 1-line block ×11, first 2 shown]
	v_mul_i32_i24_e32 v108, 10, v78
	v_add_f64 v[58:59], v[64:65], -v[148:149]
	v_add_f64 v[62:63], v[2:3], v[112:113]
	v_add_f64 v[64:65], v[4:5], v[116:117]
	v_add_f64 v[2:3], v[2:3], -v[112:113]
	v_add_f64 v[4:5], v[4:5], -v[116:117]
	v_add_f64 v[66:67], v[128:129], v[122:123]
	v_add_f64 v[68:69], v[130:131], v[124:125]
	v_add_f64 v[6:7], v[128:129], -v[122:123]
	v_add_f64 v[8:9], v[130:131], -v[124:125]
	s_mov_b32 s4, 0xe8584caa
	s_mov_b32 s5, 0xbfebb67a
	;; [unrolled: 1-line block ×3, first 2 shown]
	v_add_f64 v[70:71], v[120:121], v[134:135]
	v_add_f64 v[72:73], v[136:137], v[20:21]
	v_add_f64 v[12:13], v[136:137], -v[20:21]
	v_add_f64 v[18:19], v[14:15], v[138:139]
	v_add_f64 v[20:21], v[140:141], v[16:17]
	v_add_f64 v[10:11], v[120:121], -v[134:135]
	v_lshl_add_u32 v134, v108, 4, 0
	v_add_f64 v[106:107], v[118:119], v[114:115]
	v_add_f64 v[108:109], v[126:127], v[142:143]
	v_add_f64 v[14:15], v[14:15], -v[138:139]
	v_and_b32_e32 v138, 0xff, v0
	ds_write_b128 v134, v[30:33]
	v_mul_i32_i24_e32 v31, 10, v80
	v_add_f64 v[110:111], v[118:119], -v[114:115]
	v_add_f64 v[112:113], v[126:127], -v[142:143]
	v_mul_lo_u16 v30, 0xcd, v138
	v_and_b32_e32 v139, 0xff, v78
	v_lshl_add_u32 v136, v31, 4, 0
	v_add_f64 v[16:17], v[140:141], -v[16:17]
	ds_write_b128 v134, v[34:37] offset:16
	ds_write_b128 v134, v[42:45] offset:32
	;; [unrolled: 1-line block ×3, first 2 shown]
	v_lshrrev_b16 v144, 11, v30
	ds_write_b128 v134, v[54:57] offset:64
	ds_write_b128 v134, v[22:25] offset:80
	;; [unrolled: 1-line block ×6, first 2 shown]
	ds_write_b128 v136, v[62:65]
	ds_write_b128 v136, v[66:69] offset:16
	ds_write_b128 v136, v[70:73] offset:32
	;; [unrolled: 1-line block ×4, first 2 shown]
	v_mul_lo_u16 v22, v144, 10
	ds_write_b128 v136, v[2:5] offset:80
	v_mul_lo_u16 v2, 0xcd, v139
	v_mov_b32_e32 v38, 5
	ds_write_b128 v136, v[6:9] offset:96
	ds_write_b128 v136, v[10:13] offset:112
	;; [unrolled: 1-line block ×3, first 2 shown]
	v_sub_nc_u16 v145, v0, v22
	v_lshrrev_b16 v148, 11, v2
	ds_write_b128 v136, v[110:113] offset:144
	s_waitcnt lgkmcnt(0)
	s_barrier
	v_mul_u32_u24_sdwa v18, v145, v38 dst_sel:DWORD dst_unused:UNUSED_PAD src0_sel:BYTE_0 src1_sel:DWORD
	v_mul_lo_u16 v2, v148, 10
	buffer_gl0_inv
	v_mov_b32_e32 v4, 0xcccd
	v_lshl_add_u32 v137, v98, 4, 0
	v_lshlrev_b32_e32 v3, 4, v18
	v_sub_nc_u16 v149, v78, v2
	s_clause 0x4
	global_load_dwordx4 v[34:37], v3, s[12:13]
	global_load_dwordx4 v[30:33], v3, s[12:13] offset:16
	global_load_dwordx4 v[22:25], v3, s[12:13] offset:48
	;; [unrolled: 1-line block ×4, first 2 shown]
	v_mul_u32_u24_sdwa v2, v149, v38 dst_sel:DWORD dst_unused:UNUSED_PAD src0_sel:BYTE_0 src1_sel:DWORD
	v_mul_u32_u24_sdwa v5, v104, v4 dst_sel:DWORD dst_unused:UNUSED_PAD src0_sel:WORD_0 src1_sel:DWORD
	v_lshl_add_u32 v135, v90, 4, 0
	s_mov_b32 s0, s4
	v_lshlrev_b32_e32 v2, 4, v2
	v_lshrrev_b32_e32 v140, 19, v5
	global_load_dwordx4 v[66:69], v2, s[12:13] offset:64
	v_mul_u32_u24_sdwa v3, v80, v4 dst_sel:DWORD dst_unused:UNUSED_PAD src0_sel:WORD_0 src1_sel:DWORD
	s_clause 0x3
	global_load_dwordx4 v[52:55], v2, s[12:13]
	global_load_dwordx4 v[44:47], v2, s[12:13] offset:16
	global_load_dwordx4 v[48:51], v2, s[12:13] offset:32
	;; [unrolled: 1-line block ×3, first 2 shown]
	v_lshrrev_b32_e32 v143, 19, v3
	v_mul_lo_u16 v2, v140, 10
	v_mul_lo_u16 v3, v143, 10
	v_sub_nc_u16 v141, v104, v2
	v_sub_nc_u16 v142, v80, v3
	v_mul_u32_u24_sdwa v2, v141, v38 dst_sel:DWORD dst_unused:UNUSED_PAD src0_sel:WORD_0 src1_sel:DWORD
	v_mul_u32_u24_sdwa v3, v142, v38 dst_sel:DWORD dst_unused:UNUSED_PAD src0_sel:WORD_0 src1_sel:DWORD
	v_lshlrev_b32_e32 v2, 4, v2
	v_lshlrev_b32_e32 v3, 4, v3
	s_clause 0x4
	global_load_dwordx4 v[70:73], v3, s[12:13]
	global_load_dwordx4 v[150:153], v3, s[12:13] offset:16
	global_load_dwordx4 v[154:157], v3, s[12:13] offset:32
	;; [unrolled: 1-line block ×4, first 2 shown]
	v_mul_u32_u24_sdwa v3, v102, v4 dst_sel:DWORD dst_unused:UNUSED_PAD src0_sel:WORD_0 src1_sel:DWORD
	s_clause 0x3
	global_load_dwordx4 v[166:169], v2, s[12:13]
	global_load_dwordx4 v[170:173], v2, s[12:13] offset:16
	global_load_dwordx4 v[174:177], v2, s[12:13] offset:32
	;; [unrolled: 1-line block ×3, first 2 shown]
	v_lshrrev_b32_e32 v146, 19, v3
	v_mul_lo_u16 v3, v146, 10
	v_sub_nc_u16 v147, v102, v3
	v_mul_u32_u24_sdwa v3, v147, v38 dst_sel:DWORD dst_unused:UNUSED_PAD src0_sel:WORD_0 src1_sel:DWORD
	v_lshlrev_b32_e32 v10, 4, v3
	s_clause 0x5
	global_load_dwordx4 v[182:185], v2, s[12:13] offset:64
	global_load_dwordx4 v[14:17], v10, s[12:13]
	global_load_dwordx4 v[18:21], v10, s[12:13] offset:16
	global_load_dwordx4 v[2:5], v10, s[12:13] offset:32
	;; [unrolled: 1-line block ×4, first 2 shown]
	ds_read_b128 v[106:109], v137
	ds_read_b128 v[110:113], v135
	ds_read_b128 v[114:117], v132 offset:30720
	ds_read_b128 v[118:121], v132 offset:40960
	;; [unrolled: 1-line block ×7, first 2 shown]
	s_waitcnt vmcnt(24) lgkmcnt(8)
	v_mul_f64 v[122:123], v[108:109], v[36:37]
	v_mul_f64 v[124:125], v[106:107], v[36:37]
	s_waitcnt vmcnt(23) lgkmcnt(7)
	v_mul_f64 v[126:127], v[112:113], v[32:33]
	s_waitcnt vmcnt(21) lgkmcnt(4)
	v_mul_f64 v[210:211], v[130:131], v[58:59]
	v_mul_f64 v[212:213], v[128:129], v[58:59]
	;; [unrolled: 1-line block ×3, first 2 shown]
	s_waitcnt vmcnt(20)
	v_mul_f64 v[202:203], v[116:117], v[28:29]
	v_mul_f64 v[204:205], v[114:115], v[28:29]
	;; [unrolled: 1-line block ×4, first 2 shown]
	ds_read_b128 v[36:39], v132 offset:28672
	ds_read_b128 v[198:201], v132 offset:32768
	ds_read_b128 v[58:61], v132
	s_waitcnt vmcnt(18) lgkmcnt(6)
	v_mul_f64 v[214:215], v[188:189], v[54:55]
	v_mul_f64 v[54:55], v[186:187], v[54:55]
	v_fma_f64 v[226:227], v[106:107], v[34:35], v[122:123]
	s_waitcnt vmcnt(17) lgkmcnt(5)
	v_mul_f64 v[106:107], v[196:197], v[46:47]
	v_fma_f64 v[228:229], v[108:109], v[34:35], -v[124:125]
	v_fma_f64 v[128:129], v[128:129], v[56:57], v[210:211]
	v_fma_f64 v[130:131], v[130:131], v[56:57], -v[212:213]
	s_waitcnt vmcnt(15) lgkmcnt(4)
	v_mul_f64 v[56:57], v[192:193], v[64:65]
	v_mul_f64 v[64:65], v[190:191], v[64:65]
	v_fma_f64 v[124:125], v[110:111], v[30:31], v[126:127]
	v_fma_f64 v[230:231], v[112:113], v[30:31], -v[32:33]
	v_fma_f64 v[232:233], v[114:115], v[26:27], v[202:203]
	ds_read_b128 v[28:31], v132 offset:53248
	v_fma_f64 v[234:235], v[116:117], v[26:27], -v[204:205]
	ds_read_b128 v[24:27], v132 offset:14336
	ds_read_b128 v[202:205], v132 offset:18432
	;; [unrolled: 1-line block ×4, first 2 shown]
	v_fma_f64 v[236:237], v[118:119], v[22:23], v[206:207]
	v_fma_f64 v[126:127], v[120:121], v[22:23], -v[208:209]
	ds_read_b128 v[206:209], v132 offset:34816
	v_mul_f64 v[22:23], v[194:195], v[46:47]
	v_fma_f64 v[108:109], v[186:187], v[52:53], v[214:215]
	v_fma_f64 v[116:117], v[188:189], v[52:53], -v[54:55]
	ds_read_b128 v[210:213], v132 offset:45056
	ds_read_b128 v[214:217], v132 offset:55296
	;; [unrolled: 1-line block ×3, first 2 shown]
	s_waitcnt lgkmcnt(10)
	v_mul_f64 v[46:47], v[200:201], v[50:51]
	v_mul_f64 v[50:51], v[198:199], v[50:51]
	ds_read_b128 v[222:225], v132 offset:26624
	v_fma_f64 v[114:115], v[192:193], v[62:63], -v[64:65]
	s_waitcnt lgkmcnt(9)
	v_mul_f64 v[110:111], v[30:31], v[68:69]
	v_mul_f64 v[68:69], v[28:29], v[68:69]
	s_waitcnt vmcnt(14) lgkmcnt(8)
	v_mul_f64 v[238:239], v[26:27], v[72:73]
	v_mul_f64 v[240:241], v[24:25], v[72:73]
	s_waitcnt vmcnt(13) lgkmcnt(6)
	v_mul_f64 v[242:243], v[34:35], v[152:153]
	v_fma_f64 v[72:73], v[194:195], v[44:45], v[106:107]
	v_mul_f64 v[52:53], v[32:33], v[152:153]
	v_fma_f64 v[106:107], v[190:191], v[62:63], v[56:57]
	ds_read_b128 v[190:193], v132 offset:36864
	s_waitcnt vmcnt(12) lgkmcnt(5)
	v_mul_f64 v[152:153], v[206:207], v[156:157]
	v_add_f64 v[244:245], v[234:235], v[130:131]
	v_fma_f64 v[118:119], v[196:197], v[44:45], -v[22:23]
	s_waitcnt vmcnt(10) lgkmcnt(3)
	v_mul_f64 v[44:45], v[216:217], v[164:165]
	v_mul_f64 v[54:55], v[208:209], v[156:157]
	ds_read_b128 v[194:197], v132 offset:57344
	v_fma_f64 v[120:121], v[198:199], v[48:49], v[46:47]
	v_mul_f64 v[46:47], v[214:215], v[164:165]
	v_fma_f64 v[122:123], v[200:201], v[48:49], -v[50:51]
	s_waitcnt vmcnt(6) lgkmcnt(3)
	v_mul_f64 v[164:165], v[186:187], v[180:181]
	v_add_f64 v[200:201], v[234:235], -v[130:131]
	v_fma_f64 v[110:111], v[28:29], v[66:67], v[110:111]
	v_fma_f64 v[112:113], v[30:31], v[66:67], -v[68:69]
	v_fma_f64 v[64:65], v[24:25], v[70:71], v[238:239]
	v_fma_f64 v[66:67], v[26:27], v[70:71], -v[240:241]
	v_fma_f64 v[56:57], v[32:33], v[150:151], v[242:243]
	v_add_f64 v[32:33], v[232:233], v[128:129]
	v_fma_f64 v[62:63], v[34:35], v[150:151], -v[52:53]
	v_mul_f64 v[24:25], v[220:221], v[168:169]
	v_mul_f64 v[26:27], v[218:219], v[168:169]
	v_fma_f64 v[70:71], v[208:209], v[154:155], -v[152:153]
	ds_read_b128 v[150:153], v132 offset:38912
	v_mul_f64 v[22:23], v[210:211], v[160:161]
	v_mul_f64 v[156:157], v[212:213], v[160:161]
	v_fma_f64 v[28:29], v[244:245], -0.5, v[228:229]
	v_add_f64 v[160:161], v[232:233], -v[128:129]
	v_fma_f64 v[52:53], v[214:215], v[162:163], v[44:45]
	s_waitcnt lgkmcnt(3)
	v_mul_f64 v[44:45], v[222:223], v[172:173]
	v_fma_f64 v[68:69], v[206:207], v[154:155], v[54:55]
	v_fma_f64 v[54:55], v[216:217], v[162:163], -v[46:47]
	s_waitcnt lgkmcnt(2)
	v_mul_f64 v[46:47], v[192:193], v[176:177]
	v_mul_f64 v[162:163], v[188:189], v[180:181]
	v_add_f64 v[180:181], v[124:125], v[236:237]
	v_fma_f64 v[30:31], v[218:219], v[166:167], v[24:25]
	v_fma_f64 v[34:35], v[220:221], v[166:167], -v[26:27]
	s_waitcnt vmcnt(4)
	v_mul_f64 v[166:167], v[202:203], v[16:17]
	v_fma_f64 v[26:27], v[188:189], v[178:179], -v[164:165]
	v_fma_f64 v[50:51], v[212:213], v[158:159], -v[22:23]
	v_mul_f64 v[22:23], v[224:225], v[172:173]
	v_fma_f64 v[48:49], v[210:211], v[158:159], v[156:157]
	ds_read_b128 v[154:157], v132 offset:59392
	v_mul_f64 v[158:159], v[190:191], v[176:177]
	s_waitcnt lgkmcnt(2)
	v_mul_f64 v[168:169], v[196:197], v[184:185]
	v_mul_f64 v[172:173], v[194:195], v[184:185]
	;; [unrolled: 1-line block ×3, first 2 shown]
	v_fma_f64 v[184:185], v[32:33], -0.5, v[226:227]
	v_fma_f64 v[198:199], v[160:161], s[0:1], v[28:29]
	v_fma_f64 v[16:17], v[224:225], v[170:171], -v[44:45]
	v_fma_f64 v[24:25], v[186:187], v[178:179], v[162:163]
	s_waitcnt vmcnt(3)
	v_mul_f64 v[162:163], v[38:39], v[20:21]
	v_mul_f64 v[164:165], v[36:37], v[20:21]
	v_fma_f64 v[46:47], v[190:191], v[174:175], v[46:47]
	s_waitcnt vmcnt(1)
	v_mul_f64 v[188:189], v[42:43], v[8:9]
	s_waitcnt lgkmcnt(1)
	v_mul_f64 v[186:187], v[152:153], v[4:5]
	v_mul_f64 v[4:5], v[150:151], v[4:5]
	;; [unrolled: 1-line block ×3, first 2 shown]
	v_fma_f64 v[22:23], v[222:223], v[170:171], v[22:23]
	v_add_f64 v[170:171], v[230:231], v[126:127]
	s_waitcnt vmcnt(0) lgkmcnt(0)
	v_mul_f64 v[190:191], v[156:157], v[12:13]
	v_fma_f64 v[44:45], v[192:193], v[174:175], -v[158:159]
	v_fma_f64 v[158:159], v[160:161], s[4:5], v[28:29]
	v_fma_f64 v[28:29], v[194:195], v[182:183], v[168:169]
	v_add_f64 v[160:161], v[58:59], v[124:125]
	v_add_f64 v[168:169], v[60:61], v[230:231]
	v_fma_f64 v[20:21], v[202:203], v[14:15], v[176:177]
	v_fma_f64 v[58:59], v[180:181], -0.5, v[58:59]
	v_mul_f64 v[176:177], v[198:199], s[4:5]
	v_fma_f64 v[178:179], v[200:201], s[4:5], v[184:185]
	v_add_f64 v[180:181], v[230:231], -v[126:127]
	v_fma_f64 v[14:15], v[204:205], v[14:15], -v[166:167]
	v_mul_f64 v[166:167], v[198:199], 0.5
	v_add_f64 v[124:125], v[124:125], -v[236:237]
	v_fma_f64 v[32:33], v[196:197], v[182:183], -v[172:173]
	v_add_f64 v[172:173], v[226:227], v[232:233]
	v_add_f64 v[174:175], v[228:229], v[234:235]
	;; [unrolled: 1-line block ×3, first 2 shown]
	v_mul_f64 v[12:13], v[154:155], v[12:13]
	v_fma_f64 v[162:163], v[36:37], v[18:19], v[162:163]
	v_fma_f64 v[18:19], v[38:39], v[18:19], -v[164:165]
	v_fma_f64 v[60:61], v[170:171], -0.5, v[60:61]
	v_fma_f64 v[170:171], v[200:201], s[0:1], v[184:185]
	v_add_f64 v[38:39], v[120:121], v[110:111]
	v_mul_f64 v[184:185], v[158:159], s[4:5]
	v_mul_f64 v[158:159], v[158:159], -0.5
	v_add_f64 v[160:161], v[160:161], v[236:237]
	v_add_f64 v[126:127], v[168:169], v[126:127]
	v_mov_b32_e32 v196, 0x3c0
	v_add_f64 v[194:195], v[122:123], -v[112:113]
	v_mov_b32_e32 v222, 0x780
	v_fma_f64 v[164:165], v[178:179], 0.5, v[176:177]
	v_fma_f64 v[168:169], v[180:181], s[4:5], v[58:59]
	v_fma_f64 v[166:167], v[178:179], s[0:1], v[166:167]
	;; [unrolled: 1-line block ×3, first 2 shown]
	v_mov_b32_e32 v58, 4
	v_add_f64 v[128:129], v[172:173], v[128:129]
	v_add_f64 v[130:131], v[174:175], v[130:131]
	v_fma_f64 v[172:173], v[182:183], -0.5, v[116:117]
	v_add_f64 v[174:175], v[120:121], -v[110:111]
	v_fma_f64 v[182:183], v[152:153], v[2:3], -v[4:5]
	v_fma_f64 v[176:177], v[124:125], s[0:1], v[60:61]
	v_fma_f64 v[59:60], v[124:125], s[4:5], v[60:61]
	v_mad_i32_i24 v124, 0xffffff70, v78, v134
	v_fma_f64 v[180:181], v[170:171], -0.5, v[184:185]
	v_fma_f64 v[184:185], v[40:41], v[6:7], v[188:189]
	v_fma_f64 v[188:189], v[154:155], v[10:11], v[190:191]
	v_fma_f64 v[190:191], v[156:157], v[10:11], -v[12:13]
	ds_read_b128 v[10:13], v124
	v_fma_f64 v[158:159], v[170:171], s[0:1], v[158:159]
	v_mad_i32_i24 v125, 0xffffff70, v80, v136
	v_fma_f64 v[170:171], v[150:151], v[2:3], v[186:187]
	v_add_f64 v[36:37], v[168:169], v[164:165]
	v_add_f64 v[40:41], v[168:169], -v[164:165]
	v_add_f64 v[164:165], v[70:71], v[54:55]
	ds_read_b128 v[154:157], v125
	v_fma_f64 v[186:187], v[42:43], v[6:7], -v[8:9]
	v_add_f64 v[2:3], v[160:161], v[128:129]
	v_add_f64 v[4:5], v[126:127], v[130:131]
	v_add_f64 v[6:7], v[160:161], -v[128:129]
	v_add_f64 v[8:9], v[126:127], -v[130:131]
	v_fma_f64 v[160:161], v[38:39], -0.5, v[108:109]
	v_mul_u32_u24_sdwa v61, v144, v196 dst_sel:DWORD dst_unused:UNUSED_PAD src0_sel:WORD_0 src1_sel:DWORD
	v_add_f64 v[38:39], v[176:177], v[166:167]
	v_add_f64 v[42:43], v[176:177], -v[166:167]
	v_add_f64 v[166:167], v[118:119], v[114:115]
	v_add_f64 v[126:127], v[178:179], v[180:181]
	v_add_f64 v[150:151], v[178:179], -v[180:181]
	s_waitcnt lgkmcnt(1)
	v_add_f64 v[168:169], v[12:13], v[118:119]
	v_add_f64 v[180:181], v[116:117], v[122:123]
	v_lshlrev_b32_sdwa v116, v58, v145 dst_sel:DWORD dst_unused:UNUSED_PAD src0_sel:DWORD src1_sel:BYTE_0
	v_fma_f64 v[144:145], v[174:175], s[4:5], v[172:173]
	v_add_f64 v[130:131], v[72:73], v[106:107]
	v_fma_f64 v[192:193], v[174:175], s[0:1], v[172:173]
	v_add_f64 v[128:129], v[59:60], v[158:159]
	v_add_f64 v[176:177], v[10:11], v[72:73]
	;; [unrolled: 1-line block ×3, first 2 shown]
	v_add_f64 v[152:153], v[59:60], -v[158:159]
	v_fma_f64 v[59:60], v[164:165], -0.5, v[66:67]
	v_add_f64 v[158:159], v[68:69], v[52:53]
	v_add_f64 v[164:165], v[68:69], -v[52:53]
	v_add_f64 v[174:175], v[118:119], -v[114:115]
	;; [unrolled: 1-line block ×3, first 2 shown]
	v_fma_f64 v[172:173], v[194:195], s[4:5], v[160:161]
	v_fma_f64 v[160:161], v[194:195], s[0:1], v[160:161]
	v_add_f64 v[194:195], v[70:71], -v[54:55]
	v_lshl_add_u32 v109, v104, 4, 0
	v_fma_f64 v[12:13], v[166:167], -0.5, v[12:13]
	v_add3_u32 v197, 0, v61, v116
	v_lshl_add_u32 v108, v102, 4, 0
	v_add_f64 v[114:115], v[168:169], v[114:115]
	v_add_f64 v[112:113], v[180:181], v[112:113]
	;; [unrolled: 1-line block ×3, first 2 shown]
	v_mul_f64 v[168:169], v[144:145], s[4:5]
	v_mul_f64 v[144:145], v[144:145], -0.5
	v_fma_f64 v[10:11], v[130:131], -0.5, v[10:11]
	v_mul_f64 v[130:131], v[192:193], s[4:5]
	v_mul_f64 v[166:167], v[192:193], 0.5
	v_add_f64 v[106:107], v[176:177], v[106:107]
	v_add_f64 v[110:111], v[178:179], v[110:111]
	;; [unrolled: 1-line block ×3, first 2 shown]
	v_fma_f64 v[158:159], v[158:159], -0.5, v[64:65]
	v_fma_f64 v[192:193], v[164:165], s[0:1], v[59:60]
	v_fma_f64 v[59:60], v[164:165], s[4:5], v[59:60]
	ds_read_b128 v[116:119], v109
	ds_read_b128 v[120:123], v108
	s_waitcnt lgkmcnt(0)
	s_barrier
	buffer_gl0_inv
	ds_write_b128 v197, v[2:5]
	ds_write_b128 v197, v[36:39] offset:160
	ds_write_b128 v197, v[126:129] offset:320
	v_fma_f64 v[128:129], v[72:73], s[0:1], v[12:13]
	v_fma_f64 v[72:73], v[72:73], s[4:5], v[12:13]
	ds_write_b128 v197, v[6:9] offset:480
	ds_write_b128 v197, v[40:43] offset:640
	v_add_f64 v[4:5], v[114:115], v[112:113]
	v_add_f64 v[12:13], v[114:115], -v[112:113]
	v_fma_f64 v[164:165], v[160:161], -0.5, v[168:169]
	v_fma_f64 v[144:145], v[160:161], s[0:1], v[144:145]
	v_fma_f64 v[176:177], v[174:175], s[4:5], v[10:11]
	v_fma_f64 v[130:131], v[172:173], 0.5, v[130:131]
	v_fma_f64 v[126:127], v[172:173], s[0:1], v[166:167]
	v_fma_f64 v[166:167], v[174:175], s[0:1], v[10:11]
	v_add_f64 v[2:3], v[106:107], v[110:111]
	v_add_f64 v[10:11], v[106:107], -v[110:111]
	v_fma_f64 v[106:107], v[178:179], -0.5, v[154:155]
	v_add_f64 v[110:111], v[154:155], v[56:57]
	v_add_f64 v[112:113], v[156:157], v[62:63]
	;; [unrolled: 1-line block ×4, first 2 shown]
	v_fma_f64 v[156:157], v[180:181], -0.5, v[156:157]
	v_mul_f64 v[160:161], v[192:193], s[4:5]
	v_fma_f64 v[168:169], v[194:195], s[4:5], v[158:159]
	v_mul_f64 v[172:173], v[192:193], 0.5
	v_add_f64 v[174:175], v[62:63], -v[50:51]
	v_add_f64 v[56:57], v[56:57], -v[48:49]
	v_fma_f64 v[158:159], v[194:195], s[0:1], v[158:159]
	v_mul_f64 v[178:179], v[59:60], s[4:5]
	v_mul_f64 v[180:181], v[59:60], -0.5
	v_add_f64 v[65:66], v[72:73], v[144:145]
	v_add_f64 v[69:70], v[72:73], -v[144:145]
	v_add_f64 v[71:72], v[44:45], v[32:33]
	v_add_f64 v[36:37], v[176:177], v[130:131]
	;; [unrolled: 1-line block ×4, first 2 shown]
	v_add_f64 v[61:62], v[128:129], -v[126:127]
	v_mul_u32_u24_sdwa v73, v148, v196 dst_sel:DWORD dst_unused:UNUSED_PAD src0_sel:WORD_0 src1_sel:DWORD
	v_lshlrev_b32_sdwa v126, v58, v149 dst_sel:DWORD dst_unused:UNUSED_PAD src0_sel:DWORD src1_sel:BYTE_0
	v_add_f64 v[59:60], v[176:177], -v[130:131]
	v_add_f64 v[67:68], v[166:167], -v[164:165]
	v_add_f64 v[48:49], v[110:111], v[48:49]
	v_add_f64 v[50:51], v[112:113], v[50:51]
	;; [unrolled: 1-line block ×4, first 2 shown]
	v_add3_u32 v73, 0, v73, v126
	v_fma_f64 v[110:111], v[168:169], 0.5, v[160:161]
	v_fma_f64 v[112:113], v[168:169], s[0:1], v[172:173]
	v_fma_f64 v[114:115], v[174:175], s[4:5], v[106:107]
	;; [unrolled: 1-line block ×3, first 2 shown]
	v_add_f64 v[144:145], v[182:183], v[190:191]
	v_fma_f64 v[106:107], v[174:175], s[0:1], v[106:107]
	v_fma_f64 v[56:57], v[56:57], s[4:5], v[156:157]
	v_fma_f64 v[128:129], v[158:159], -0.5, v[178:179]
	v_fma_f64 v[130:131], v[158:159], s[0:1], v[180:181]
	ds_write_b128 v197, v[150:153] offset:800
	ds_write_b128 v73, v[2:5]
	ds_write_b128 v73, v[36:39] offset:160
	ds_write_b128 v73, v[63:66] offset:320
	;; [unrolled: 1-line block ×5, first 2 shown]
	v_fma_f64 v[59:60], v[71:72], -0.5, v[34:35]
	v_add_f64 v[61:62], v[46:47], v[28:29]
	v_add_f64 v[63:64], v[46:47], -v[28:29]
	v_add_f64 v[34:35], v[34:35], v[44:45]
	v_mul_u32_u24_e32 v73, 0x3c0, v143
	v_add_f64 v[65:66], v[16:17], v[26:27]
	v_add_f64 v[67:68], v[116:117], v[22:23]
	;; [unrolled: 1-line block ×5, first 2 shown]
	v_add_f64 v[6:7], v[48:49], -v[52:53]
	v_add_f64 v[8:9], v[50:51], -v[54:55]
	v_add_f64 v[52:53], v[170:171], v[188:189]
	v_add_f64 v[10:11], v[114:115], v[110:111]
	;; [unrolled: 1-line block ×3, first 2 shown]
	v_fma_f64 v[50:51], v[144:145], -0.5, v[14:15]
	v_add_f64 v[54:55], v[170:171], -v[188:189]
	v_add_f64 v[36:37], v[114:115], -v[110:111]
	v_add_f64 v[40:41], v[106:107], v[128:129]
	v_add_f64 v[42:43], v[56:57], v[130:131]
	v_lshlrev_b32_sdwa v110, v58, v142 dst_sel:DWORD dst_unused:UNUSED_PAD src0_sel:DWORD src1_sel:WORD_0
	v_add_f64 v[48:49], v[22:23], v[24:25]
	v_add_f64 v[71:72], v[30:31], v[46:47]
	v_fma_f64 v[30:31], v[61:62], -0.5, v[30:31]
	v_fma_f64 v[61:62], v[63:64], s[0:1], v[59:60]
	v_add3_u32 v73, 0, v73, v110
	v_add_f64 v[110:111], v[44:45], -v[32:33]
	v_add_f64 v[46:47], v[56:57], -v[130:131]
	v_fma_f64 v[56:57], v[63:64], s[4:5], v[59:60]
	v_add_f64 v[32:33], v[34:35], v[32:33]
	v_add_f64 v[59:60], v[69:70], v[26:27]
	ds_write_b128 v73, v[2:5]
	v_add_f64 v[2:3], v[162:163], v[184:185]
	v_add_f64 v[4:5], v[18:19], v[186:187]
	ds_write_b128 v73, v[10:13] offset:160
	ds_write_b128 v73, v[40:43] offset:320
	v_fma_f64 v[12:13], v[52:53], -0.5, v[20:21]
	v_fma_f64 v[40:41], v[54:55], s[0:1], v[50:51]
	v_add_f64 v[42:43], v[182:183], -v[190:191]
	v_fma_f64 v[34:35], v[54:55], s[4:5], v[50:51]
	v_fma_f64 v[10:11], v[48:49], -0.5, v[116:117]
	v_fma_f64 v[48:49], v[65:66], -0.5, v[118:119]
	v_add_f64 v[52:53], v[67:68], v[24:25]
	v_add_f64 v[16:17], v[16:17], -v[26:27]
	v_add_f64 v[22:23], v[22:23], -v[24:25]
	v_mul_f64 v[24:25], v[61:62], s[4:5]
	v_fma_f64 v[26:27], v[110:111], s[4:5], v[30:31]
	v_mul_f64 v[50:51], v[61:62], 0.5
	v_fma_f64 v[30:31], v[110:111], s[0:1], v[30:31]
	v_mul_f64 v[54:55], v[56:57], s[4:5]
	v_mul_f64 v[56:57], v[56:57], -0.5
	v_add_f64 v[44:45], v[106:107], -v[128:129]
	v_add_f64 v[28:29], v[71:72], v[28:29]
	v_fma_f64 v[61:62], v[2:3], -0.5, v[120:121]
	v_fma_f64 v[63:64], v[4:5], -0.5, v[122:123]
	v_add_f64 v[67:68], v[122:123], v[18:19]
	v_add_f64 v[18:19], v[18:19], -v[186:187]
	v_add_f64 v[106:107], v[162:163], -v[184:185]
	ds_write_b128 v73, v[6:9] offset:480
	v_mul_f64 v[69:70], v[40:41], s[4:5]
	v_fma_f64 v[71:72], v[42:43], s[4:5], v[12:13]
	v_mul_f64 v[40:41], v[40:41], 0.5
	v_fma_f64 v[6:7], v[42:43], s[0:1], v[12:13]
	v_mul_f64 v[8:9], v[34:35], s[4:5]
	v_mul_f64 v[12:13], v[34:35], -0.5
	v_add_f64 v[65:66], v[120:121], v[162:163]
	v_add_f64 v[20:21], v[20:21], v[170:171]
	;; [unrolled: 1-line block ×3, first 2 shown]
	v_fma_f64 v[24:25], v[26:27], 0.5, v[24:25]
	v_fma_f64 v[26:27], v[26:27], s[0:1], v[50:51]
	v_fma_f64 v[34:35], v[16:17], s[4:5], v[10:11]
	;; [unrolled: 1-line block ×5, first 2 shown]
	v_fma_f64 v[48:49], v[30:31], -0.5, v[54:55]
	v_fma_f64 v[30:31], v[30:31], s[0:1], v[56:57]
	v_add_f64 v[38:39], v[126:127], -v[112:113]
	v_add_f64 v[2:3], v[52:53], v[28:29]
	v_add_f64 v[4:5], v[59:60], v[32:33]
	v_fma_f64 v[110:111], v[18:19], s[4:5], v[61:62]
	v_fma_f64 v[112:113], v[106:107], s[0:1], v[63:64]
	;; [unrolled: 1-line block ×3, first 2 shown]
	v_fma_f64 v[69:70], v[71:72], 0.5, v[69:70]
	v_fma_f64 v[71:72], v[71:72], s[0:1], v[40:41]
	v_fma_f64 v[63:64], v[106:107], s[4:5], v[63:64]
	v_fma_f64 v[106:107], v[6:7], -0.5, v[8:9]
	v_fma_f64 v[114:115], v[6:7], s[0:1], v[12:13]
	v_add_f64 v[54:55], v[65:66], v[184:185]
	v_add_f64 v[56:57], v[67:68], v[186:187]
	;; [unrolled: 1-line block ×4, first 2 shown]
	v_add_f64 v[6:7], v[52:53], -v[28:29]
	v_mul_u32_u24_e32 v28, 0x3c0, v140
	v_lshlrev_b32_sdwa v29, v58, v141 dst_sel:DWORD dst_unused:UNUSED_PAD src0_sel:DWORD src1_sel:WORD_0
	v_add_f64 v[8:9], v[59:60], -v[32:33]
	v_add_f64 v[10:11], v[34:35], v[24:25]
	v_add_f64 v[12:13], v[42:43], v[26:27]
	;; [unrolled: 1-line block ×4, first 2 shown]
	v_add_f64 v[14:15], v[34:35], -v[24:25]
	v_add3_u32 v24, 0, v28, v29
	ds_write_b128 v73, v[36:39] offset:640
	ds_write_b128 v73, v[44:47] offset:800
	v_add_f64 v[16:17], v[42:43], -v[26:27]
	v_add_f64 v[26:27], v[50:51], -v[48:49]
	;; [unrolled: 1-line block ×3, first 2 shown]
	ds_write_b128 v24, v[2:5]
	v_add_f64 v[2:3], v[110:111], v[69:70]
	v_add_f64 v[4:5], v[112:113], v[71:72]
	;; [unrolled: 1-line block ×4, first 2 shown]
	v_mul_lo_u16 v25, 0x89, v138
	v_add_f64 v[30:31], v[54:55], v[65:66]
	v_add_f64 v[32:33], v[56:57], v[67:68]
	v_add_f64 v[38:39], v[54:55], -v[65:66]
	v_add_f64 v[40:41], v[56:57], -v[67:68]
	;; [unrolled: 1-line block ×6, first 2 shown]
	v_mul_u32_u24_e32 v22, 0x3c0, v146
	v_lshlrev_b32_sdwa v23, v58, v147 dst_sel:DWORD dst_unused:UNUSED_PAD src0_sel:DWORD src1_sel:WORD_0
	v_lshrrev_b16 v25, 13, v25
	ds_write_b128 v24, v[10:13] offset:160
	ds_write_b128 v24, v[18:21] offset:320
	;; [unrolled: 1-line block ×3, first 2 shown]
	v_mul_lo_u16 v7, 0x89, v139
	v_add3_u32 v10, 0, v22, v23
	v_mul_lo_u16 v6, v25, 60
	v_mov_b32_e32 v8, 0x8889
	ds_write_b128 v24, v[14:17] offset:640
	ds_write_b128 v24, v[26:29] offset:800
	ds_write_b128 v10, v[30:33]
	v_lshrrev_b16 v12, 13, v7
	ds_write_b128 v10, v[2:5] offset:160
	ds_write_b128 v10, v[34:37] offset:320
	v_sub_nc_u16 v2, v0, v6
	v_mul_u32_u24_sdwa v6, v80, v8 dst_sel:DWORD dst_unused:UNUSED_PAD src0_sel:WORD_0 src1_sel:DWORD
	v_mul_u32_u24_sdwa v5, v104, v8 dst_sel:DWORD dst_unused:UNUSED_PAD src0_sel:WORD_0 src1_sel:DWORD
	v_mul_lo_u16 v3, v12, 60
	v_mul_u32_u24_sdwa v4, v102, v8 dst_sel:DWORD dst_unused:UNUSED_PAD src0_sel:WORD_0 src1_sel:DWORD
	v_lshlrev_b32_sdwa v30, v58, v2 dst_sel:DWORD dst_unused:UNUSED_PAD src0_sel:DWORD src1_sel:BYTE_0
	v_lshrrev_b32_e32 v13, 21, v6
	v_lshrrev_b32_e32 v14, 21, v5
	v_sub_nc_u16 v2, v78, v3
	ds_write_b128 v10, v[38:41] offset:480
	ds_write_b128 v10, v[42:45] offset:640
	;; [unrolled: 1-line block ×3, first 2 shown]
	v_mul_lo_u16 v9, v13, 60
	v_mul_lo_u16 v10, v14, 60
	v_mul_u32_u24_sdwa v3, v98, v8 dst_sel:DWORD dst_unused:UNUSED_PAD src0_sel:WORD_0 src1_sel:DWORD
	v_lshlrev_b32_sdwa v27, v58, v2 dst_sel:DWORD dst_unused:UNUSED_PAD src0_sel:DWORD src1_sel:BYTE_0
	v_lshrrev_b32_e32 v16, 21, v4
	s_waitcnt lgkmcnt(0)
	s_barrier
	buffer_gl0_inv
	v_sub_nc_u16 v2, v80, v9
	v_sub_nc_u16 v9, v104, v10
	v_lshrrev_b32_e32 v21, 21, v3
	s_clause 0x1
	global_load_dwordx4 v[45:48], v30, s[12:13] offset:800
	global_load_dwordx4 v[50:53], v27, s[12:13] offset:800
	v_mul_lo_u16 v10, v16, 60
	v_lshlrev_b32_sdwa v28, v58, v2 dst_sel:DWORD dst_unused:UNUSED_PAD src0_sel:DWORD src1_sel:WORD_0
	v_lshlrev_b32_sdwa v24, v58, v9 dst_sel:DWORD dst_unused:UNUSED_PAD src0_sel:DWORD src1_sel:WORD_0
	v_mul_lo_u16 v9, v21, 60
	v_mul_u32_u24_sdwa v2, v100, v8 dst_sel:DWORD dst_unused:UNUSED_PAD src0_sel:WORD_0 src1_sel:DWORD
	v_sub_nc_u16 v10, v102, v10
	v_mul_u32_u24_sdwa v19, v96, v8 dst_sel:DWORD dst_unused:UNUSED_PAD src0_sel:WORD_0 src1_sel:DWORD
	v_mul_u32_u24_sdwa v17, v94, v8 dst_sel:DWORD dst_unused:UNUSED_PAD src0_sel:WORD_0 src1_sel:DWORD
	v_sub_nc_u16 v9, v98, v9
	v_lshrrev_b32_e32 v29, 21, v2
	s_clause 0x1
	global_load_dwordx4 v[54:57], v28, s[12:13] offset:800
	global_load_dwordx4 v[59:62], v24, s[12:13] offset:800
	v_lshlrev_b32_sdwa v31, v58, v10 dst_sel:DWORD dst_unused:UNUSED_PAD src0_sel:DWORD src1_sel:WORD_0
	v_lshrrev_b32_e32 v15, 21, v19
	v_lshlrev_b32_sdwa v32, v58, v9 dst_sel:DWORD dst_unused:UNUSED_PAD src0_sel:DWORD src1_sel:WORD_0
	v_lshrrev_b32_e32 v11, 21, v17
	v_mul_lo_u16 v9, v29, 60
	v_mul_u32_u24_sdwa v18, v92, v8 dst_sel:DWORD dst_unused:UNUSED_PAD src0_sel:WORD_0 src1_sel:DWORD
	s_clause 0x1
	global_load_dwordx4 v[63:66], v31, s[12:13] offset:800
	global_load_dwordx4 v[67:70], v32, s[12:13] offset:800
	v_mul_lo_u16 v10, v15, 60
	v_mul_lo_u16 v20, v11, 60
	v_mul_u32_u24_sdwa v35, v90, v8 dst_sel:DWORD dst_unused:UNUSED_PAD src0_sel:WORD_0 src1_sel:DWORD
	v_sub_nc_u16 v9, v100, v9
	v_lshrrev_b32_e32 v23, 21, v18
	v_sub_nc_u16 v10, v96, v10
	v_sub_nc_u16 v22, v94, v20
	v_lshrrev_b32_e32 v20, 21, v35
	v_lshlrev_b32_sdwa v43, v58, v9 dst_sel:DWORD dst_unused:UNUSED_PAD src0_sel:DWORD src1_sel:WORD_0
	v_mul_lo_u16 v9, v23, 60
	v_mul_u32_u24_sdwa v36, v88, v8 dst_sel:DWORD dst_unused:UNUSED_PAD src0_sel:WORD_0 src1_sel:DWORD
	v_lshlrev_b32_sdwa v26, v58, v10 dst_sel:DWORD dst_unused:UNUSED_PAD src0_sel:DWORD src1_sel:WORD_0
	v_mul_lo_u16 v10, v20, 60
	v_mul_u32_u24_sdwa v34, v86, v8 dst_sel:DWORD dst_unused:UNUSED_PAD src0_sel:WORD_0 src1_sel:DWORD
	v_sub_nc_u16 v9, v92, v9
	v_mul_u32_u24_sdwa v33, v84, v8 dst_sel:DWORD dst_unused:UNUSED_PAD src0_sel:WORD_0 src1_sel:DWORD
	v_lshrrev_b32_e32 v37, 21, v36
	v_mul_u32_u24_sdwa v49, v82, v8 dst_sel:DWORD dst_unused:UNUSED_PAD src0_sel:WORD_0 src1_sel:DWORD
	s_clause 0x1
	global_load_dwordx4 v[110:113], v43, s[12:13] offset:800
	global_load_dwordx4 v[114:117], v26, s[12:13] offset:800
	v_lshlrev_b32_sdwa v22, v58, v22 dst_sel:DWORD dst_unused:UNUSED_PAD src0_sel:DWORD src1_sel:WORD_0
	v_sub_nc_u16 v10, v90, v10
	v_lshrrev_b32_e32 v39, 21, v34
	v_lshlrev_b32_sdwa v41, v58, v9 dst_sel:DWORD dst_unused:UNUSED_PAD src0_sel:DWORD src1_sel:WORD_0
	v_lshrrev_b32_e32 v38, 21, v33
	v_mul_lo_u16 v9, v37, 60
	v_lshrrev_b32_e32 v8, 21, v49
	v_mul_lo_u16 v42, v39, 60
	v_lshlrev_b32_sdwa v40, v58, v10 dst_sel:DWORD dst_unused:UNUSED_PAD src0_sel:DWORD src1_sel:WORD_0
	v_mul_lo_u16 v10, v38, 60
	v_sub_nc_u16 v9, v88, v9
	s_clause 0x1
	global_load_dwordx4 v[118:121], v22, s[12:13] offset:800
	global_load_dwordx4 v[126:129], v41, s[12:13] offset:800
	v_mul_lo_u16 v71, v8, 60
	v_sub_nc_u16 v42, v86, v42
	global_load_dwordx4 v[138:141], v40, s[12:13] offset:800
	v_lshlrev_b32_sdwa v44, v58, v9 dst_sel:DWORD dst_unused:UNUSED_PAD src0_sel:DWORD src1_sel:WORD_0
	v_sub_nc_u16 v9, v84, v10
	v_sub_nc_u16 v71, v82, v71
	v_lshlrev_b32_sdwa v42, v58, v42 dst_sel:DWORD dst_unused:UNUSED_PAD src0_sel:DWORD src1_sel:WORD_0
	v_mul_u32_u24_sdwa v25, v25, v222 dst_sel:DWORD dst_unused:UNUSED_PAD src0_sel:WORD_0 src1_sel:DWORD
	global_load_dwordx4 v[142:145], v44, s[12:13] offset:800
	v_lshlrev_b32_sdwa v10, v58, v9 dst_sel:DWORD dst_unused:UNUSED_PAD src0_sel:DWORD src1_sel:WORD_0
	v_lshlrev_b32_sdwa v9, v58, v71 dst_sel:DWORD dst_unused:UNUSED_PAD src0_sel:DWORD src1_sel:WORD_0
	s_clause 0x2
	global_load_dwordx4 v[146:149], v42, s[12:13] offset:800
	global_load_dwordx4 v[150:153], v10, s[12:13] offset:800
	;; [unrolled: 1-line block ×3, first 2 shown]
	ds_read_b128 v[158:161], v132 offset:30720
	ds_read_b128 v[162:165], v132 offset:32768
	ds_read_b128 v[166:169], v132 offset:34816
	ds_read_b128 v[170:173], v132 offset:36864
	ds_read_b128 v[174:177], v132 offset:38912
	ds_read_b128 v[178:181], v132
	ds_read_b128 v[182:185], v132 offset:40960
	ds_read_b128 v[186:189], v132 offset:43008
	;; [unrolled: 1-line block ×3, first 2 shown]
	v_mul_u32_u24_sdwa v12, v12, v222 dst_sel:DWORD dst_unused:UNUSED_PAD src0_sel:WORD_0 src1_sel:DWORD
	v_add3_u32 v25, 0, v25, v30
	v_lshl_add_u32 v73, v82, 4, 0
	v_mul_u32_u24_e32 v13, 0x780, v13
	v_mul_u32_u24_e32 v14, 0x780, v14
	v_add3_u32 v12, 0, v12, v27
	v_mul_u32_u24_e32 v11, 0x780, v11
	v_mul_u32_u24_e32 v20, 0x780, v20
	v_add3_u32 v13, 0, v13, v28
	v_mul_u32_u24_e32 v8, 0x780, v8
	v_cmp_gt_u32_e64 s0, 0x78, v0
	v_add3_u32 v11, 0, v11, v22
	v_lshrrev_b16 v7, 14, v7
	v_lshrrev_b32_e32 v22, 22, v2
	v_lshrrev_b32_e32 v2, 23, v2
	s_add_u32 s1, s12, 0xef60
	s_addc_u32 s4, s13, 0
	s_mov_b32 s5, exec_lo
	v_mul_lo_u16 v2, 0xf0, v2
	v_sub_nc_u16 v2, v100, v2
	v_lshlrev_b32_sdwa v2, v58, v2 dst_sel:DWORD dst_unused:UNUSED_PAD src0_sel:DWORD src1_sel:WORD_0
	s_waitcnt vmcnt(14) lgkmcnt(8)
	v_mul_f64 v[71:72], v[160:161], v[47:48]
	v_mul_f64 v[47:48], v[158:159], v[47:48]
	s_waitcnt vmcnt(13) lgkmcnt(7)
	v_mul_f64 v[106:107], v[164:165], v[52:53]
	v_mul_f64 v[52:53], v[162:163], v[52:53]
	;; [unrolled: 3-line block ×4, first 2 shown]
	s_waitcnt vmcnt(10) lgkmcnt(4)
	v_mul_f64 v[194:195], v[176:177], v[65:66]
	s_waitcnt vmcnt(9) lgkmcnt(2)
	v_mul_f64 v[200:201], v[184:185], v[69:70]
	v_mul_f64 v[65:66], v[174:175], v[65:66]
	v_fma_f64 v[196:197], v[158:159], v[45:46], v[71:72]
	v_fma_f64 v[198:199], v[160:161], v[45:46], -v[47:48]
	ds_read_b128 v[45:48], v132 offset:47104
	v_fma_f64 v[106:107], v[162:163], v[50:51], v[106:107]
	v_fma_f64 v[202:203], v[164:165], v[50:51], -v[52:53]
	ds_read_b128 v[50:53], v132 offset:49152
	ds_read_b128 v[158:161], v132 offset:51200
	;; [unrolled: 1-line block ×3, first 2 shown]
	v_fma_f64 v[166:167], v[166:167], v[54:55], v[122:123]
	v_mul_f64 v[122:123], v[182:183], v[69:70]
	ds_read_b128 v[69:72], v132 offset:53248
	v_fma_f64 v[168:169], v[168:169], v[54:55], -v[56:57]
	ds_read_b128 v[54:57], v132 offset:55296
	s_waitcnt vmcnt(8) lgkmcnt(7)
	v_mul_f64 v[204:205], v[188:189], v[112:113]
	v_mul_f64 v[112:113], v[186:187], v[112:113]
	v_fma_f64 v[130:131], v[170:171], v[59:60], v[130:131]
	v_fma_f64 v[170:171], v[172:173], v[59:60], -v[61:62]
	ds_read_b128 v[59:62], v132 offset:59392
	v_fma_f64 v[174:175], v[174:175], v[63:64], v[194:195]
	v_fma_f64 v[182:183], v[182:183], v[67:68], v[200:201]
	s_waitcnt vmcnt(7) lgkmcnt(7)
	v_mul_f64 v[172:173], v[192:193], v[116:117]
	v_mul_f64 v[116:117], v[190:191], v[116:117]
	v_fma_f64 v[176:177], v[176:177], v[63:64], -v[65:66]
	v_add_f64 v[63:64], v[178:179], -v[196:197]
	s_waitcnt vmcnt(6) lgkmcnt(6)
	v_mul_f64 v[194:195], v[47:48], v[120:121]
	v_mul_f64 v[200:201], v[45:46], v[120:121]
	s_waitcnt vmcnt(5) lgkmcnt(5)
	v_mul_f64 v[206:207], v[52:53], v[128:129]
	v_mul_f64 v[128:129], v[50:51], v[128:129]
	;; [unrolled: 3-line block ×3, first 2 shown]
	v_add_f64 v[65:66], v[180:181], -v[198:199]
	v_fma_f64 v[184:185], v[184:185], v[67:68], -v[122:123]
	ds_read_b128 v[120:123], v124
	s_waitcnt vmcnt(3) lgkmcnt(3)
	v_mul_f64 v[210:211], v[71:72], v[144:145]
	v_fma_f64 v[186:187], v[186:187], v[110:111], v[204:205]
	v_fma_f64 v[188:189], v[188:189], v[110:111], -v[112:113]
	s_waitcnt vmcnt(2) lgkmcnt(2)
	v_mul_f64 v[67:68], v[56:57], v[148:149]
	v_mul_f64 v[148:149], v[54:55], v[148:149]
	;; [unrolled: 1-line block ×3, first 2 shown]
	s_waitcnt vmcnt(0) lgkmcnt(1)
	v_mul_f64 v[110:111], v[61:62], v[156:157]
	v_mul_f64 v[112:113], v[59:60], v[156:157]
	v_fma_f64 v[190:191], v[190:191], v[114:115], v[172:173]
	v_fma_f64 v[192:193], v[192:193], v[114:115], -v[116:117]
	v_lshl_add_u32 v114, v100, 4, 0
	v_mul_f64 v[204:205], v[164:165], v[152:153]
	v_fma_f64 v[194:195], v[45:46], v[118:119], v[194:195]
	v_fma_f64 v[196:197], v[47:48], v[118:119], -v[200:201]
	ds_read_b128 v[45:48], v125
	v_fma_f64 v[198:199], v[50:51], v[126:127], v[206:207]
	v_fma_f64 v[200:201], v[52:53], v[126:127], -v[128:129]
	ds_read_b128 v[50:53], v109
	ds_read_b128 v[115:118], v137
	v_fma_f64 v[206:207], v[158:159], v[138:139], v[208:209]
	v_fma_f64 v[208:209], v[160:161], v[138:139], -v[140:141]
	v_mul_f64 v[152:153], v[162:163], v[152:153]
	v_fma_f64 v[210:211], v[69:70], v[142:143], v[210:211]
	v_fma_f64 v[212:213], v[54:55], v[146:147], v[67:68]
	ds_read_b128 v[67:70], v108
	v_fma_f64 v[214:215], v[56:57], v[146:147], -v[148:149]
	v_fma_f64 v[218:219], v[59:60], v[154:155], v[110:111]
	v_fma_f64 v[220:221], v[61:62], v[154:155], -v[112:113]
	s_waitcnt lgkmcnt(4)
	v_add_f64 v[59:60], v[120:121], -v[106:107]
	v_add_f64 v[61:62], v[122:123], -v[202:203]
	v_lshl_add_u32 v113, v96, 4, 0
	v_fma_f64 v[71:72], v[71:72], v[142:143], -v[144:145]
	s_waitcnt lgkmcnt(3)
	v_add_f64 v[126:127], v[45:46], -v[166:167]
	v_add_f64 v[128:129], v[47:48], -v[168:169]
	ds_read_b128 v[138:141], v114
	ds_read_b128 v[142:145], v113
	s_waitcnt lgkmcnt(4)
	v_add_f64 v[146:147], v[50:51], -v[130:131]
	v_add_f64 v[148:149], v[52:53], -v[170:171]
	v_fma_f64 v[54:55], v[178:179], 2.0, -v[63:64]
	v_fma_f64 v[56:57], v[180:181], 2.0, -v[65:66]
	v_lshl_add_u32 v112, v94, 4, 0
	v_lshl_add_u32 v111, v92, 4, 0
	v_fma_f64 v[204:205], v[162:163], v[150:151], v[204:205]
	v_fma_f64 v[216:217], v[164:165], v[150:151], -v[152:153]
	ds_read_b128 v[150:153], v112
	ds_read_b128 v[154:157], v111
	ds_read_b128 v[158:161], v135
	s_waitcnt lgkmcnt(5)
	v_add_f64 v[170:171], v[67:68], -v[174:175]
	v_add_f64 v[172:173], v[69:70], -v[176:177]
	;; [unrolled: 1-line block ×4, first 2 shown]
	v_lshl_add_u32 v110, v88, 4, 0
	v_fma_f64 v[119:120], v[120:121], 2.0, -v[59:60]
	v_fma_f64 v[121:122], v[122:123], 2.0, -v[61:62]
	v_lshl_add_u32 v106, v84, 4, 0
	s_waitcnt lgkmcnt(4)
	v_add_f64 v[186:187], v[138:139], -v[186:187]
	v_fma_f64 v[45:46], v[45:46], 2.0, -v[126:127]
	v_fma_f64 v[47:48], v[47:48], 2.0, -v[128:129]
	v_add_f64 v[188:189], v[140:141], -v[188:189]
	v_fma_f64 v[50:51], v[50:51], 2.0, -v[146:147]
	v_fma_f64 v[52:53], v[52:53], 2.0, -v[148:149]
	v_lshl_add_u32 v107, v86, 4, 0
	ds_read_b128 v[162:165], v110
	ds_read_b128 v[166:169], v107
	;; [unrolled: 1-line block ×4, first 2 shown]
	s_waitcnt lgkmcnt(0)
	s_barrier
	buffer_gl0_inv
	ds_write_b128 v25, v[54:57]
	ds_write_b128 v25, v[63:66] offset:960
	ds_write_b128 v12, v[119:122]
	v_fma_f64 v[54:55], v[67:68], 2.0, -v[170:171]
	v_fma_f64 v[56:57], v[69:70], 2.0, -v[172:173]
	;; [unrolled: 1-line block ×4, first 2 shown]
	ds_write_b128 v12, v[59:62] offset:960
	v_add_f64 v[59:60], v[142:143], -v[190:191]
	v_add3_u32 v12, 0, v14, v24
	v_add_f64 v[61:62], v[144:145], -v[192:193]
	ds_write_b128 v13, v[45:48]
	ds_write_b128 v13, v[126:129] offset:960
	v_fma_f64 v[45:46], v[138:139], 2.0, -v[186:187]
	v_fma_f64 v[47:48], v[140:141], 2.0, -v[188:189]
	ds_write_b128 v12, v[50:53]
	v_add_f64 v[50:51], v[150:151], -v[194:195]
	v_add_f64 v[52:53], v[152:153], -v[196:197]
	v_add_f64 v[67:68], v[154:155], -v[198:199]
	v_add_f64 v[69:70], v[156:157], -v[200:201]
	v_mul_u32_u24_e32 v13, 0x780, v16
	v_mul_u32_u24_e32 v14, 0x780, v21
	;; [unrolled: 1-line block ×3, first 2 shown]
	v_add_f64 v[119:120], v[178:179], -v[204:205]
	v_add_f64 v[121:122], v[180:181], -v[216:217]
	v_add3_u32 v13, 0, v13, v31
	v_add3_u32 v14, 0, v14, v32
	ds_write_b128 v12, v[146:149] offset:960
	ds_write_b128 v13, v[54:57]
	ds_write_b128 v13, v[170:173] offset:960
	ds_write_b128 v14, v[63:66]
	v_add_f64 v[54:55], v[158:159], -v[206:207]
	v_add_f64 v[56:57], v[160:161], -v[208:209]
	v_add3_u32 v12, 0, v16, v43
	v_fma_f64 v[27:28], v[142:143], 2.0, -v[59:60]
	v_fma_f64 v[29:30], v[144:145], 2.0, -v[61:62]
	v_add_f64 v[63:64], v[162:163], -v[210:211]
	v_add_f64 v[65:66], v[164:165], -v[71:72]
	ds_write_b128 v14, v[174:177] offset:960
	ds_write_b128 v12, v[45:48]
	v_add_f64 v[45:46], v[166:167], -v[212:213]
	v_add_f64 v[47:48], v[168:169], -v[214:215]
	v_fma_f64 v[115:116], v[150:151], 2.0, -v[50:51]
	v_fma_f64 v[117:118], v[152:153], 2.0, -v[52:53]
	ds_write_b128 v12, v[186:189] offset:960
	v_mul_u32_u24_e32 v16, 0x780, v15
	v_fma_f64 v[12:13], v[154:155], 2.0, -v[67:68]
	v_fma_f64 v[14:15], v[156:157], 2.0, -v[69:70]
	v_add_f64 v[126:127], v[182:183], -v[218:219]
	v_add_f64 v[128:129], v[184:185], -v[220:221]
	v_add3_u32 v16, 0, v16, v26
	v_mul_u32_u24_e32 v21, 0x780, v23
	v_fma_f64 v[23:24], v[158:159], 2.0, -v[54:55]
	v_fma_f64 v[25:26], v[160:161], 2.0, -v[56:57]
	ds_write_b128 v16, v[59:62] offset:960
	v_mov_b32_e32 v62, 0
	ds_write_b128 v16, v[27:30]
	v_add3_u32 v16, 0, v21, v41
	v_fma_f64 v[138:139], v[162:163], 2.0, -v[63:64]
	v_fma_f64 v[140:141], v[164:165], 2.0, -v[65:66]
	;; [unrolled: 1-line block ×4, first 2 shown]
	ds_write_b128 v11, v[115:118]
	ds_write_b128 v11, v[50:53] offset:960
	v_mul_u32_u24_e32 v21, 0x780, v37
	ds_write_b128 v16, v[12:15]
	v_fma_f64 v[11:12], v[178:179], 2.0, -v[119:120]
	v_fma_f64 v[13:14], v[180:181], 2.0, -v[121:122]
	v_fma_f64 v[50:51], v[182:183], 2.0, -v[126:127]
	v_fma_f64 v[52:53], v[184:185], 2.0, -v[128:129]
	v_add3_u32 v15, 0, v20, v40
	v_mul_u32_u24_e32 v20, 0x780, v39
	ds_write_b128 v16, v[67:70] offset:960
	ds_write_b128 v15, v[23:26]
	ds_write_b128 v15, v[54:57] offset:960
	v_mul_u32_u24_e32 v16, 0x780, v38
	v_add3_u32 v21, 0, v21, v44
	v_add3_u32 v15, 0, v20, v42
	v_add_nc_u32_e32 v20, 0xffffff88, v0
	v_lshrrev_b32_e32 v24, 22, v34
	v_add3_u32 v10, 0, v16, v10
	ds_write_b128 v21, v[138:141]
	ds_write_b128 v21, v[63:66] offset:960
	ds_write_b128 v15, v[27:30]
	ds_write_b128 v15, v[45:48] offset:960
	v_add3_u32 v15, 0, v8, v9
	v_cndmask_b32_e64 v61, v20, v0, s0
	v_mul_lo_u16 v37, 0x78, v24
	ds_write_b128 v10, v[11:14]
	ds_write_b128 v10, v[119:122] offset:960
	ds_write_b128 v15, v[50:53]
	ds_write_b128 v15, v[126:129] offset:960
	v_mul_lo_u16 v10, 0x78, v7
	v_lshrrev_b32_e32 v13, 22, v6
	v_lshlrev_b64 v[8:9], 4, v[61:62]
	v_lshrrev_b32_e32 v6, 22, v5
	v_lshrrev_b32_e32 v14, 22, v3
	v_sub_nc_u16 v10, v78, v10
	v_mul_lo_u16 v11, 0x78, v13
	s_waitcnt lgkmcnt(0)
	v_add_co_u32 v8, s0, s12, v8
	v_add_co_ci_u32_e64 v9, s0, s13, v9, s0
	v_lshlrev_b32_sdwa v21, v58, v10 dst_sel:DWORD dst_unused:UNUSED_PAD src0_sel:DWORD src1_sel:BYTE_0
	v_sub_nc_u16 v10, v80, v11
	v_lshrrev_b32_e32 v11, 22, v4
	s_barrier
	v_mul_lo_u16 v12, 0x78, v6
	buffer_gl0_inv
	s_clause 0x1
	global_load_dwordx4 v[41:44], v[8:9], off offset:1760
	global_load_dwordx4 v[45:48], v21, s[12:13] offset:1760
	v_mul_lo_u16 v8, 0x78, v11
	v_lshlrev_b32_sdwa v26, v58, v10 dst_sel:DWORD dst_unused:UNUSED_PAD src0_sel:DWORD src1_sel:WORD_0
	v_mul_lo_u16 v9, 0x78, v14
	v_sub_nc_u16 v12, v104, v12
	v_sub_nc_u16 v37, v86, v37
	v_sub_nc_u16 v10, v102, v8
	global_load_dwordx4 v[50:53], v26, s[12:13] offset:1760
	v_sub_nc_u16 v9, v98, v9
	v_lshrrev_b32_e32 v8, 22, v19
	v_lshlrev_b32_sdwa v15, v58, v12 dst_sel:DWORD dst_unused:UNUSED_PAD src0_sel:DWORD src1_sel:WORD_0
	v_lshlrev_b32_sdwa v25, v58, v10 dst_sel:DWORD dst_unused:UNUSED_PAD src0_sel:DWORD src1_sel:WORD_0
	v_mul_lo_u16 v12, 0x78, v22
	v_lshlrev_b32_sdwa v27, v58, v9 dst_sel:DWORD dst_unused:UNUSED_PAD src0_sel:DWORD src1_sel:WORD_0
	v_mul_lo_u16 v10, 0x78, v8
	s_clause 0x1
	global_load_dwordx4 v[54:57], v15, s[12:13] offset:1760
	global_load_dwordx4 v[63:66], v25, s[12:13] offset:1760
	v_lshrrev_b32_e32 v9, 22, v17
	global_load_dwordx4 v[67:70], v27, s[12:13] offset:1760
	v_sub_nc_u16 v16, v96, v10
	v_lshrrev_b32_e32 v10, 22, v18
	v_sub_nc_u16 v12, v100, v12
	v_mul_lo_u16 v20, 0x78, v9
	v_cmp_lt_u32_e64 s0, 0x77, v0
	v_lshlrev_b32_e32 v61, 4, v61
	v_mul_lo_u16 v23, 0x78, v10
	v_lshlrev_b32_sdwa v29, v58, v12 dst_sel:DWORD dst_unused:UNUSED_PAD src0_sel:DWORD src1_sel:WORD_0
	v_sub_nc_u16 v20, v94, v20
	v_lshlrev_b32_sdwa v12, v58, v16 dst_sel:DWORD dst_unused:UNUSED_PAD src0_sel:DWORD src1_sel:WORD_0
	v_lshrrev_b32_e32 v16, 22, v35
	v_sub_nc_u16 v28, v92, v23
	v_lshrrev_b32_e32 v23, 22, v36
	v_lshlrev_b32_sdwa v20, v58, v20 dst_sel:DWORD dst_unused:UNUSED_PAD src0_sel:DWORD src1_sel:WORD_0
	s_clause 0x1
	global_load_dwordx4 v[115:118], v29, s[12:13] offset:1760
	global_load_dwordx4 v[119:122], v12, s[12:13] offset:1760
	v_mul_lo_u16 v30, 0x78, v16
	v_lshlrev_b32_sdwa v28, v58, v28 dst_sel:DWORD dst_unused:UNUSED_PAD src0_sel:DWORD src1_sel:WORD_0
	v_mul_lo_u16 v32, 0x78, v23
	s_clause 0x1
	global_load_dwordx4 v[126:129], v20, s[12:13] offset:1760
	global_load_dwordx4 v[138:141], v28, s[12:13] offset:1760
	v_sub_nc_u16 v31, v90, v30
	v_sub_nc_u16 v32, v88, v32
	v_lshrrev_b32_e32 v30, 22, v33
	v_cndmask_b32_e64 v123, 0, 0xf00, s0
	v_mul_u32_u24_e32 v13, 0xf00, v13
	v_lshlrev_b32_sdwa v31, v58, v31 dst_sel:DWORD dst_unused:UNUSED_PAD src0_sel:DWORD src1_sel:WORD_0
	v_lshlrev_b32_sdwa v39, v58, v32 dst_sel:DWORD dst_unused:UNUSED_PAD src0_sel:DWORD src1_sel:WORD_0
	v_lshlrev_b32_sdwa v32, v58, v37 dst_sel:DWORD dst_unused:UNUSED_PAD src0_sel:DWORD src1_sel:WORD_0
	v_mul_lo_u16 v38, 0x78, v30
	v_add3_u32 v61, 0, v123, v61
	s_clause 0x2
	global_load_dwordx4 v[142:145], v31, s[12:13] offset:1760
	global_load_dwordx4 v[146:149], v39, s[12:13] offset:1760
	;; [unrolled: 1-line block ×3, first 2 shown]
	v_mov_b32_e32 v123, 0xf00
	v_sub_nc_u16 v40, v84, v38
	v_lshrrev_b32_e32 v38, 22, v49
	v_mul_u32_u24_e32 v6, 0xf00, v6
	v_add3_u32 v13, 0, v13, v26
	v_mul_u32_u24_sdwa v7, v7, v123 dst_sel:DWORD dst_unused:UNUSED_PAD src0_sel:WORD_0 src1_sel:DWORD
	v_lshlrev_b32_sdwa v37, v58, v40 dst_sel:DWORD dst_unused:UNUSED_PAD src0_sel:DWORD src1_sel:WORD_0
	v_mul_lo_u16 v40, 0x78, v38
	v_add3_u32 v6, 0, v6, v15
	v_mul_u32_u24_e32 v10, 0xf00, v10
	v_add3_u32 v7, 0, v7, v21
	global_load_dwordx4 v[154:157], v37, s[12:13] offset:1760
	v_sub_nc_u16 v40, v82, v40
	v_mul_u32_u24_e32 v21, 0xf00, v9
	v_add3_u32 v10, 0, v10, v28
	v_lshrrev_b32_e32 v4, 23, v4
	v_lshlrev_b32_sdwa v40, v58, v40 dst_sel:DWORD dst_unused:UNUSED_PAD src0_sel:DWORD src1_sel:WORD_0
	v_add3_u32 v20, 0, v21, v20
	v_mul_lo_u16 v4, 0xf0, v4
	global_load_dwordx4 v[158:161], v40, s[12:13] offset:1760
	ds_read_b128 v[162:165], v132 offset:30720
	ds_read_b128 v[166:169], v132 offset:32768
	;; [unrolled: 1-line block ×5, first 2 shown]
	ds_read_b128 v[182:185], v132
	ds_read_b128 v[186:189], v132 offset:40960
	ds_read_b128 v[190:193], v132 offset:43008
	;; [unrolled: 1-line block ×4, first 2 shown]
	s_waitcnt vmcnt(14) lgkmcnt(9)
	v_mul_f64 v[59:60], v[164:165], v[43:44]
	s_waitcnt vmcnt(13) lgkmcnt(8)
	v_mul_f64 v[130:131], v[168:169], v[47:48]
	v_mul_f64 v[47:48], v[166:167], v[47:48]
	;; [unrolled: 1-line block ×3, first 2 shown]
	s_waitcnt vmcnt(12) lgkmcnt(7)
	v_mul_f64 v[202:203], v[172:173], v[52:53]
	v_mul_f64 v[52:53], v[170:171], v[52:53]
	s_waitcnt vmcnt(11) lgkmcnt(6)
	v_mul_f64 v[204:205], v[176:177], v[56:57]
	s_waitcnt vmcnt(10) lgkmcnt(5)
	v_mul_f64 v[206:207], v[180:181], v[65:66]
	v_mul_f64 v[56:57], v[174:175], v[56:57]
	s_waitcnt vmcnt(9) lgkmcnt(3)
	v_mul_f64 v[208:209], v[188:189], v[69:70]
	v_mul_f64 v[210:211], v[186:187], v[69:70]
	ds_read_b128 v[69:72], v132 offset:49152
	v_mul_f64 v[65:66], v[178:179], v[65:66]
	v_fma_f64 v[166:167], v[166:167], v[45:46], v[130:131]
	v_fma_f64 v[168:169], v[168:169], v[45:46], -v[47:48]
	ds_read_b128 v[45:48], v132 offset:53248
	v_fma_f64 v[59:60], v[162:163], v[41:42], v[59:60]
	v_fma_f64 v[212:213], v[164:165], v[41:42], -v[43:44]
	ds_read_b128 v[41:44], v132 offset:51200
	ds_read_b128 v[162:165], v132 offset:57344
	v_fma_f64 v[170:171], v[170:171], v[50:51], v[202:203]
	v_fma_f64 v[172:173], v[172:173], v[50:51], -v[52:53]
	ds_read_b128 v[50:53], v132 offset:55296
	s_waitcnt vmcnt(8) lgkmcnt(7)
	v_mul_f64 v[130:131], v[192:193], v[117:118]
	v_mul_f64 v[117:118], v[190:191], v[117:118]
	s_waitcnt vmcnt(7) lgkmcnt(6)
	v_mul_f64 v[202:203], v[196:197], v[121:122]
	v_mul_f64 v[121:122], v[194:195], v[121:122]
	v_fma_f64 v[174:175], v[174:175], v[54:55], v[204:205]
	v_fma_f64 v[178:179], v[178:179], v[63:64], v[206:207]
	s_waitcnt vmcnt(6) lgkmcnt(5)
	v_mul_f64 v[204:205], v[200:201], v[128:129]
	v_mul_f64 v[206:207], v[198:199], v[128:129]
	s_waitcnt vmcnt(5) lgkmcnt(4)
	v_mul_f64 v[214:215], v[71:72], v[140:141]
	v_fma_f64 v[188:189], v[188:189], v[67:68], -v[210:211]
	v_fma_f64 v[176:177], v[176:177], v[54:55], -v[56:57]
	ds_read_b128 v[54:57], v132 offset:59392
	v_mul_f64 v[140:141], v[69:70], v[140:141]
	v_fma_f64 v[180:181], v[180:181], v[63:64], -v[65:66]
	v_fma_f64 v[186:187], v[186:187], v[67:68], v[208:209]
	v_add_f64 v[63:64], v[182:183], -v[59:60]
	v_add_f64 v[65:66], v[184:185], -v[212:213]
	s_waitcnt vmcnt(3) lgkmcnt(4)
	v_mul_f64 v[210:211], v[47:48], v[148:149]
	s_waitcnt vmcnt(2) lgkmcnt(1)
	v_mul_f64 v[216:217], v[52:53], v[152:153]
	v_mul_f64 v[152:153], v[50:51], v[152:153]
	;; [unrolled: 1-line block ×3, first 2 shown]
	v_fma_f64 v[59:60], v[190:191], v[115:116], v[130:131]
	v_fma_f64 v[190:191], v[192:193], v[115:116], -v[117:118]
	v_fma_f64 v[192:193], v[194:195], v[119:120], v[202:203]
	v_fma_f64 v[194:195], v[196:197], v[119:120], -v[121:122]
	ds_read_b128 v[128:131], v124
	v_fma_f64 v[196:197], v[198:199], v[126:127], v[204:205]
	v_fma_f64 v[198:199], v[200:201], v[126:127], -v[206:207]
	v_fma_f64 v[200:201], v[69:70], v[138:139], v[214:215]
	ds_read_b128 v[67:70], v125
	v_mul_f64 v[208:209], v[43:44], v[144:145]
	v_mul_f64 v[144:145], v[41:42], v[144:145]
	s_waitcnt vmcnt(1)
	v_mul_f64 v[218:219], v[164:165], v[156:157]
	v_mul_f64 v[126:127], v[162:163], v[156:157]
	v_fma_f64 v[71:72], v[71:72], v[138:139], -v[140:141]
	v_fma_f64 v[206:207], v[45:46], v[146:147], v[210:211]
	v_fma_f64 v[210:211], v[50:51], v[150:151], v[216:217]
	v_fma_f64 v[212:213], v[52:53], v[150:151], -v[152:153]
	ds_read_b128 v[50:53], v109
	s_waitcnt vmcnt(0) lgkmcnt(3)
	v_mul_f64 v[156:157], v[56:57], v[160:161]
	v_mul_f64 v[160:161], v[54:55], v[160:161]
	ds_read_b128 v[115:118], v108
	ds_read_b128 v[119:122], v137
	s_waitcnt lgkmcnt(4)
	v_add_f64 v[45:46], v[128:129], -v[166:167]
	s_waitcnt lgkmcnt(3)
	v_add_f64 v[138:139], v[67:68], -v[170:171]
	v_add_f64 v[140:141], v[69:70], -v[172:173]
	v_fma_f64 v[202:203], v[41:42], v[142:143], v[208:209]
	v_fma_f64 v[208:209], v[47:48], v[146:147], -v[148:149]
	v_add_f64 v[47:48], v[130:131], -v[168:169]
	v_fma_f64 v[204:205], v[43:44], v[142:143], -v[144:145]
	v_fma_f64 v[41:42], v[182:183], 2.0, -v[63:64]
	v_fma_f64 v[43:44], v[184:185], 2.0, -v[65:66]
	v_fma_f64 v[214:215], v[162:163], v[154:155], v[218:219]
	v_fma_f64 v[216:217], v[164:165], v[154:155], -v[126:127]
	s_waitcnt lgkmcnt(2)
	v_add_f64 v[166:167], v[50:51], -v[174:175]
	v_add_f64 v[168:169], v[52:53], -v[176:177]
	s_waitcnt lgkmcnt(1)
	v_add_f64 v[170:171], v[115:116], -v[178:179]
	v_add_f64 v[172:173], v[117:118], -v[180:181]
	v_fma_f64 v[218:219], v[54:55], v[158:159], v[156:157]
	v_fma_f64 v[220:221], v[56:57], v[158:159], -v[160:161]
	ds_read_b128 v[54:57], v114
	ds_read_b128 v[142:145], v113
	;; [unrolled: 1-line block ×7, first 2 shown]
	s_waitcnt lgkmcnt(7)
	v_add_f64 v[174:175], v[119:120], -v[186:187]
	v_add_f64 v[176:177], v[121:122], -v[188:189]
	v_fma_f64 v[126:127], v[128:129], 2.0, -v[45:46]
	ds_read_b128 v[178:181], v106
	ds_read_b128 v[182:185], v73
	s_waitcnt lgkmcnt(0)
	s_barrier
	buffer_gl0_inv
	v_fma_f64 v[67:68], v[67:68], 2.0, -v[138:139]
	v_fma_f64 v[69:70], v[69:70], 2.0, -v[140:141]
	;; [unrolled: 1-line block ×3, first 2 shown]
	ds_write_b128 v61, v[41:44]
	v_add_f64 v[41:42], v[54:55], -v[59:60]
	v_add_f64 v[43:44], v[56:57], -v[190:191]
	v_fma_f64 v[50:51], v[50:51], 2.0, -v[166:167]
	v_fma_f64 v[52:53], v[52:53], 2.0, -v[168:169]
	;; [unrolled: 1-line block ×4, first 2 shown]
	ds_write_b128 v61, v[63:66] offset:1920
	ds_write_b128 v7, v[126:129]
	ds_write_b128 v7, v[45:48] offset:1920
	v_fma_f64 v[119:120], v[119:120], 2.0, -v[174:175]
	v_fma_f64 v[121:122], v[121:122], 2.0, -v[176:177]
	v_add_f64 v[45:46], v[142:143], -v[192:193]
	v_add_f64 v[47:48], v[144:145], -v[194:195]
	v_mul_u32_u24_e32 v7, 0xf00, v11
	v_mul_u32_u24_e32 v11, 0xf00, v14
	v_fma_f64 v[54:55], v[54:55], 2.0, -v[41:42]
	v_fma_f64 v[56:57], v[56:57], 2.0, -v[43:44]
	ds_write_b128 v13, v[67:70]
	ds_write_b128 v13, v[138:141] offset:1920
	v_add3_u32 v7, 0, v7, v25
	v_add3_u32 v11, 0, v11, v27
	v_add_f64 v[63:64], v[146:147], -v[196:197]
	v_add_f64 v[65:66], v[148:149], -v[198:199]
	ds_write_b128 v6, v[50:53]
	ds_write_b128 v6, v[166:169] offset:1920
	ds_write_b128 v7, v[115:118]
	ds_write_b128 v7, v[170:173] offset:1920
	ds_write_b128 v11, v[119:122]
	v_add_f64 v[50:51], v[150:151], -v[200:201]
	v_add_f64 v[52:53], v[152:153], -v[71:72]
	v_mul_u32_u24_e32 v6, 0xf00, v22
	v_add_f64 v[115:116], v[154:155], -v[202:203]
	v_fma_f64 v[67:68], v[142:143], 2.0, -v[45:46]
	v_add_f64 v[117:118], v[156:157], -v[204:205]
	v_fma_f64 v[69:70], v[144:145], 2.0, -v[47:48]
	ds_write_b128 v11, v[174:177] offset:1920
	v_add3_u32 v11, 0, v6, v29
	v_add_f64 v[126:127], v[158:159], -v[206:207]
	v_add_f64 v[128:129], v[160:161], -v[208:209]
	;; [unrolled: 1-line block ×4, first 2 shown]
	ds_write_b128 v11, v[54:57]
	v_mul_u32_u24_e32 v6, 0xf00, v8
	v_add_f64 v[54:55], v[178:179], -v[214:215]
	v_add_f64 v[56:57], v[180:181], -v[216:217]
	;; [unrolled: 1-line block ×4, first 2 shown]
	v_fma_f64 v[119:120], v[146:147], 2.0, -v[63:64]
	v_fma_f64 v[121:122], v[148:149], 2.0, -v[65:66]
	v_add3_u32 v15, 0, v6, v12
	v_fma_f64 v[6:7], v[150:151], 2.0, -v[50:51]
	v_fma_f64 v[8:9], v[152:153], 2.0, -v[52:53]
	ds_write_b128 v11, v[41:44] offset:1920
	v_fma_f64 v[11:12], v[154:155], 2.0, -v[115:116]
	ds_write_b128 v15, v[45:48] offset:1920
	v_fma_f64 v[13:14], v[156:157], 2.0, -v[117:118]
	ds_write_b128 v15, v[67:70]
	v_mul_u32_u24_e32 v15, 0xf00, v16
	ds_write_b128 v20, v[63:66] offset:1920
	v_fma_f64 v[41:42], v[158:159], 2.0, -v[126:127]
	v_fma_f64 v[43:44], v[160:161], 2.0, -v[128:129]
	;; [unrolled: 1-line block ×4, first 2 shown]
	v_lshlrev_b64 v[63:64], 4, v[0:1]
	v_add3_u32 v15, 0, v15, v31
	v_fma_f64 v[25:26], v[178:179], 2.0, -v[54:55]
	v_fma_f64 v[27:28], v[180:181], 2.0, -v[56:57]
	;; [unrolled: 1-line block ×4, first 2 shown]
	v_mul_u32_u24_e32 v16, 0xf00, v23
	ds_write_b128 v20, v[119:122]
	ds_write_b128 v10, v[6:9]
	ds_write_b128 v10, v[50:53] offset:1920
	ds_write_b128 v15, v[115:118] offset:1920
	v_add_co_u32 v115, s0, s12, v63
	v_add_co_ci_u32_e64 v116, s0, s13, v64, s0
	v_add_nc_u32_e32 v1, 0xffffff90, v0
	v_cmp_gt_u32_e64 s0, 0xf0, v78
	v_mul_u32_u24_e32 v6, 0xf00, v24
	v_add3_u32 v7, 0, v16, v39
	v_mul_u32_u24_e32 v8, 0xf00, v30
	v_mul_u32_u24_e32 v9, 0xf00, v38
	v_cndmask_b32_e64 v61, v1, v78, s0
	v_lshrrev_b32_e32 v1, 23, v5
	v_add3_u32 v6, 0, v6, v32
	ds_write_b128 v15, v[11:14]
	ds_write_b128 v7, v[41:44]
	ds_write_b128 v7, v[126:129] offset:1920
	v_add3_u32 v7, 0, v8, v37
	v_add3_u32 v8, 0, v9, v40
	v_mul_lo_u16 v9, 0xf0, v1
	ds_write_b128 v6, v[45:48]
	ds_write_b128 v6, v[138:141] offset:1920
	v_lshlrev_b64 v[5:6], 4, v[61:62]
	ds_write_b128 v7, v[25:28]
	ds_write_b128 v7, v[54:57] offset:1920
	ds_write_b128 v8, v[67:70]
	ds_write_b128 v8, v[142:145] offset:1920
	v_add_co_u32 v7, s0, 0x800, v115
	v_sub_nc_u16 v9, v104, v9
	v_add_co_ci_u32_e64 v8, s0, 0, v116, s0
	v_add_co_u32 v10, s0, s12, v5
	v_add_co_ci_u32_e64 v6, s0, s13, v6, s0
	v_lshlrev_b32_sdwa v5, v58, v9 dst_sel:DWORD dst_unused:UNUSED_PAD src0_sel:DWORD src1_sel:WORD_0
	v_add_co_u32 v9, s0, 0x800, v10
	v_add_co_ci_u32_e64 v10, s0, 0, v6, s0
	v_add_co_u32 v11, s0, s12, v5
	v_lshrrev_b32_e32 v6, 23, v3
	v_add_co_ci_u32_e64 v12, null, s13, 0, s0
	v_sub_nc_u16 v13, v102, v4
	v_add_co_u32 v3, s0, 0x800, v11
	v_mul_lo_u16 v11, 0xf0, v6
	v_add_co_ci_u32_e64 v4, s0, 0, v12, s0
	s_waitcnt lgkmcnt(0)
	s_barrier
	buffer_gl0_inv
	s_clause 0x1
	global_load_dwordx4 v[22:25], v[7:8], off offset:1632
	global_load_dwordx4 v[26:29], v[7:8], off offset:1888
	v_lshlrev_b32_sdwa v8, v58, v13 dst_sel:DWORD dst_unused:UNUSED_PAD src0_sel:DWORD src1_sel:WORD_0
	s_clause 0x1
	global_load_dwordx4 v[37:40], v[9:10], off offset:1632
	global_load_dwordx4 v[41:44], v[3:4], off offset:1632
	v_sub_nc_u16 v3, v98, v11
	v_lshrrev_b32_e32 v20, 23, v17
	v_lshrrev_b32_e32 v32, 23, v34
	v_add_co_u32 v4, s0, s12, v8
	v_add_co_ci_u32_e64 v7, null, s13, 0, s0
	v_lshlrev_b32_sdwa v10, v58, v3 dst_sel:DWORD dst_unused:UNUSED_PAD src0_sel:DWORD src1_sel:WORD_0
	v_add_co_u32 v11, s0, 0x800, v4
	v_add_co_ci_u32_e64 v12, s0, 0, v7, s0
	v_lshrrev_b32_e32 v4, 23, v19
	v_add_co_u32 v3, s0, s12, v10
	v_add_co_ci_u32_e64 v7, null, s13, 0, s0
	v_mul_lo_u16 v9, 0xf0, v4
	v_add_co_u32 v13, s0, 0x800, v3
	v_add_co_ci_u32_e64 v14, s0, 0, v7, s0
	v_add_co_u32 v7, s0, s12, v2
	v_sub_nc_u16 v3, v96, v9
	v_add_co_ci_u32_e64 v9, null, s13, 0, s0
	v_add_co_u32 v15, s0, 0x800, v7
	v_mul_lo_u16 v7, 0xf0, v20
	v_lshlrev_b32_sdwa v3, v58, v3 dst_sel:DWORD dst_unused:UNUSED_PAD src0_sel:DWORD src1_sel:WORD_0
	v_add_co_ci_u32_e64 v16, s0, 0, v9, s0
	s_clause 0x1
	global_load_dwordx4 v[45:48], v[11:12], off offset:1632
	global_load_dwordx4 v[50:53], v[13:14], off offset:1632
	v_sub_nc_u16 v30, v94, v7
	v_lshrrev_b32_e32 v7, 23, v18
	v_add_co_u32 v9, s0, s12, v3
	v_add_co_ci_u32_e64 v21, null, s13, 0, s0
	v_mul_lo_u16 v31, 0xf0, v7
	v_add_co_u32 v20, s0, 0x800, v9
	v_lshlrev_b32_sdwa v9, v58, v30 dst_sel:DWORD dst_unused:UNUSED_PAD src0_sel:DWORD src1_sel:WORD_0
	v_lshrrev_b32_e32 v12, 23, v35
	v_sub_nc_u16 v11, v92, v31
	v_add_co_ci_u32_e64 v21, s0, 0, v21, s0
	v_add_co_u32 v13, s0, s12, v9
	v_mul_lo_u16 v12, 0xf0, v12
	v_add_co_ci_u32_e64 v14, null, s13, 0, s0
	v_lshlrev_b32_sdwa v11, v58, v11 dst_sel:DWORD dst_unused:UNUSED_PAD src0_sel:DWORD src1_sel:WORD_0
	s_clause 0x1
	global_load_dwordx4 v[54:57], v[15:16], off offset:1632
	global_load_dwordx4 v[65:68], v[20:21], off offset:1632
	v_add_co_u32 v20, s0, 0x800, v13
	v_sub_nc_u16 v13, v90, v12
	v_add_co_ci_u32_e64 v21, s0, 0, v14, s0
	v_lshrrev_b32_e32 v12, 23, v36
	v_add_co_u32 v14, s0, s12, v11
	v_add_co_ci_u32_e64 v15, null, s13, 0, s0
	v_lshlrev_b32_sdwa v13, v58, v13 dst_sel:DWORD dst_unused:UNUSED_PAD src0_sel:DWORD src1_sel:WORD_0
	v_mul_lo_u16 v16, 0xf0, v12
	v_add_co_u32 v30, s0, 0x800, v14
	v_add_co_ci_u32_e64 v31, s0, 0, v15, s0
	v_add_co_u32 v15, s0, s12, v13
	v_sub_nc_u16 v14, v88, v16
	v_add_co_ci_u32_e64 v16, null, s13, 0, s0
	v_add_co_u32 v59, s0, 0x800, v15
	v_mul_lo_u16 v15, 0xf0, v32
	v_lshlrev_b32_sdwa v14, v58, v14 dst_sel:DWORD dst_unused:UNUSED_PAD src0_sel:DWORD src1_sel:WORD_0
	v_add_co_ci_u32_e64 v60, s0, 0, v16, s0
	s_clause 0x1
	global_load_dwordx4 v[69:72], v[20:21], off offset:1632
	global_load_dwordx4 v[117:120], v[30:31], off offset:1632
	v_sub_nc_u16 v123, v86, v15
	v_lshrrev_b32_e32 v15, 23, v33
	v_add_co_u32 v16, s0, s12, v14
	v_add_co_ci_u32_e64 v32, null, s13, 0, s0
	v_mul_lo_u16 v20, 0xf0, v15
	v_add_co_u32 v121, s0, 0x800, v16
	v_lshlrev_b32_sdwa v16, v58, v123 dst_sel:DWORD dst_unused:UNUSED_PAD src0_sel:DWORD src1_sel:WORD_0
	v_lshrrev_b32_e32 v21, 23, v49
	v_sub_nc_u16 v20, v84, v20
	v_add_co_ci_u32_e64 v122, s0, 0, v32, s0
	v_add_co_u32 v30, s0, s12, v16
	v_mul_lo_u16 v21, 0xf0, v21
	v_add_co_ci_u32_e64 v31, null, s13, 0, s0
	v_lshlrev_b32_sdwa v20, v58, v20 dst_sel:DWORD dst_unused:UNUSED_PAD src0_sel:DWORD src1_sel:WORD_0
	v_add_co_u32 v30, s0, 0x800, v30
	v_sub_nc_u16 v21, v82, v21
	v_add_co_ci_u32_e64 v31, s0, 0, v31, s0
	v_add_co_u32 v32, s0, s12, v20
	s_clause 0x1
	global_load_dwordx4 v[126:129], v[59:60], off offset:1632
	global_load_dwordx4 v[138:141], v[121:122], off offset:1632
	v_add_co_ci_u32_e64 v60, null, s13, 0, s0
	v_lshlrev_b32_sdwa v21, v58, v21 dst_sel:DWORD dst_unused:UNUSED_PAD src0_sel:DWORD src1_sel:WORD_0
	v_add_co_u32 v59, s0, 0x800, v32
	v_add_co_ci_u32_e64 v60, s0, 0, v60, s0
	v_add_co_u32 v32, s0, s12, v21
	v_add_co_ci_u32_e64 v121, null, s13, 0, s0
	s_clause 0x1
	global_load_dwordx4 v[142:145], v[30:31], off offset:1632
	global_load_dwordx4 v[146:149], v[59:60], off offset:1632
	v_add_co_u32 v30, s0, 0x800, v32
	v_add_co_ci_u32_e64 v31, s0, 0, v121, s0
	v_cmp_lt_u32_e64 s0, 0xef, v78
	v_lshlrev_b32_e32 v61, 4, v61
	v_mul_u32_u24_e32 v1, 0x1e00, v1
	global_load_dwordx4 v[150:153], v[30:31], off offset:1632
	ds_read_b128 v[154:157], v132 offset:30720
	ds_read_b128 v[158:161], v132 offset:32768
	;; [unrolled: 1-line block ×11, first 2 shown]
	ds_read_b128 v[198:201], v132
	ds_read_b128 v[202:205], v132 offset:53248
	ds_read_b128 v[206:209], v132 offset:55296
	;; [unrolled: 1-line block ×4, first 2 shown]
	ds_read_b128 v[218:221], v124
	ds_read_b128 v[222:225], v125
	;; [unrolled: 1-line block ×4, first 2 shown]
	v_cndmask_b32_e64 v32, 0, 0x1e00, s0
	v_add3_u32 v1, 0, v1, v5
	v_add_nc_u32_e32 v5, 0, v8
	v_mul_u32_u24_e32 v4, 0x1e00, v4
	v_add_nc_u32_e32 v9, 0, v9
	v_add3_u32 v32, 0, v32, v61
	v_lshrrev_b32_e32 v17, 24, v17
	v_lshrrev_b32_e32 v35, 24, v35
	;; [unrolled: 1-line block ×4, first 2 shown]
	v_lshlrev_b64 v[102:103], 4, v[102:103]
	v_mul_lo_u16 v17, 0x1e0, v17
	v_mul_lo_u16 v35, 0x1e0, v35
	;; [unrolled: 1-line block ×3, first 2 shown]
	v_sub_nc_u16 v35, v90, v35
	s_waitcnt vmcnt(14) lgkmcnt(19)
	v_mul_f64 v[30:31], v[156:157], v[24:25]
	v_mul_f64 v[24:25], v[154:155], v[24:25]
	s_waitcnt vmcnt(12) lgkmcnt(18)
	v_mul_f64 v[59:60], v[160:161], v[39:40]
	v_mul_f64 v[39:40], v[158:159], v[39:40]
	s_waitcnt lgkmcnt(17)
	v_mul_f64 v[121:122], v[164:165], v[28:29]
	v_mul_f64 v[28:29], v[162:163], v[28:29]
	s_waitcnt vmcnt(11) lgkmcnt(16)
	v_mul_f64 v[130:131], v[168:169], v[43:44]
	v_mul_f64 v[43:44], v[166:167], v[43:44]
	v_fma_f64 v[30:31], v[154:155], v[22:23], v[30:31]
	v_fma_f64 v[24:25], v[156:157], v[22:23], -v[24:25]
	v_fma_f64 v[59:60], v[158:159], v[37:38], v[59:60]
	v_fma_f64 v[37:38], v[160:161], v[37:38], -v[39:40]
	;; [unrolled: 2-line block ×4, first 2 shown]
	s_waitcnt vmcnt(10) lgkmcnt(15)
	v_mul_f64 v[234:235], v[172:173], v[47:48]
	v_mul_f64 v[47:48], v[170:171], v[47:48]
	s_waitcnt vmcnt(9) lgkmcnt(14)
	v_mul_f64 v[236:237], v[176:177], v[52:53]
	v_mul_f64 v[52:53], v[174:175], v[52:53]
	s_waitcnt lgkmcnt(8)
	v_add_f64 v[22:23], v[198:199], -v[30:31]
	v_add_f64 v[24:25], v[200:201], -v[24:25]
	s_waitcnt lgkmcnt(3)
	v_add_f64 v[26:27], v[218:219], -v[59:60]
	v_add_f64 v[28:29], v[220:221], -v[37:38]
	s_waitcnt lgkmcnt(2)
	v_add_f64 v[41:42], v[222:223], -v[121:122]
	s_waitcnt vmcnt(8)
	v_mul_f64 v[238:239], v[180:181], v[56:57]
	v_mul_f64 v[56:57], v[178:179], v[56:57]
	s_waitcnt vmcnt(7)
	v_mul_f64 v[154:155], v[184:185], v[67:68]
	v_mul_f64 v[67:68], v[182:183], v[67:68]
	v_fma_f64 v[168:169], v[172:173], v[45:46], -v[47:48]
	v_fma_f64 v[172:173], v[176:177], v[50:51], -v[52:53]
	v_fma_f64 v[37:38], v[198:199], 2.0, -v[22:23]
	v_fma_f64 v[178:179], v[178:179], v[54:55], v[238:239]
	v_fma_f64 v[180:181], v[180:181], v[54:55], -v[56:57]
	v_fma_f64 v[182:183], v[182:183], v[65:66], v[154:155]
	v_fma_f64 v[184:185], v[184:185], v[65:66], -v[67:68]
	s_waitcnt lgkmcnt(1)
	v_add_f64 v[65:66], v[226:227], -v[130:131]
	v_add_f64 v[67:68], v[228:229], -v[166:167]
	s_waitcnt vmcnt(6)
	v_mul_f64 v[156:157], v[188:189], v[71:72]
	v_mul_f64 v[71:72], v[186:187], v[71:72]
	s_waitcnt vmcnt(5)
	v_mul_f64 v[39:40], v[190:191], v[119:120]
	v_mul_f64 v[240:241], v[192:193], v[119:120]
	v_fma_f64 v[186:187], v[186:187], v[69:70], v[156:157]
	v_fma_f64 v[188:189], v[188:189], v[69:70], -v[71:72]
	v_fma_f64 v[192:193], v[192:193], v[117:118], -v[39:40]
	v_fma_f64 v[39:40], v[200:201], 2.0, -v[24:25]
	s_waitcnt lgkmcnt(0)
	v_add_f64 v[71:72], v[232:233], -v[168:169]
	v_fma_f64 v[190:191], v[190:191], v[117:118], v[240:241]
	s_waitcnt vmcnt(4)
	v_mul_f64 v[119:120], v[196:197], v[128:129]
	s_waitcnt vmcnt(3)
	v_mul_f64 v[158:159], v[204:205], v[140:141]
	v_mul_f64 v[140:141], v[202:203], v[140:141]
	;; [unrolled: 1-line block ×3, first 2 shown]
	s_waitcnt vmcnt(2)
	v_mul_f64 v[162:163], v[208:209], v[144:145]
	s_waitcnt vmcnt(1)
	v_mul_f64 v[43:44], v[210:211], v[148:149]
	v_mul_f64 v[164:165], v[212:213], v[148:149]
	;; [unrolled: 1-line block ×3, first 2 shown]
	v_fma_f64 v[176:177], v[232:233], 2.0, -v[71:72]
	s_waitcnt vmcnt(0)
	v_mul_f64 v[30:31], v[216:217], v[152:153]
	v_mul_f64 v[148:149], v[214:215], v[152:153]
	v_fma_f64 v[152:153], v[170:171], v[45:46], v[234:235]
	v_fma_f64 v[170:171], v[174:175], v[50:51], v[236:237]
	ds_read_b128 v[45:48], v137
	ds_read_b128 v[50:53], v114
	;; [unrolled: 1-line block ×3, first 2 shown]
	v_fma_f64 v[202:203], v[202:203], v[138:139], v[158:159]
	v_fma_f64 v[59:60], v[204:205], v[138:139], -v[140:141]
	v_fma_f64 v[138:139], v[218:219], 2.0, -v[26:27]
	v_fma_f64 v[140:141], v[220:221], 2.0, -v[28:29]
	v_fma_f64 v[194:195], v[194:195], v[126:127], v[119:120]
	v_fma_f64 v[196:197], v[196:197], v[126:127], -v[128:129]
	ds_read_b128 v[117:120], v112
	ds_read_b128 v[126:129], v111
	v_fma_f64 v[198:199], v[206:207], v[142:143], v[162:163]
	v_fma_f64 v[121:122], v[212:213], v[146:147], -v[43:44]
	v_add_f64 v[43:44], v[224:225], -v[160:161]
	v_fma_f64 v[204:205], v[210:211], v[146:147], v[164:165]
	v_fma_f64 v[162:163], v[222:223], 2.0, -v[41:42]
	v_fma_f64 v[200:201], v[208:209], v[142:143], -v[144:145]
	s_waitcnt lgkmcnt(4)
	v_add_f64 v[168:169], v[47:48], -v[172:173]
	v_fma_f64 v[172:173], v[228:229], 2.0, -v[67:68]
	v_add_f64 v[69:70], v[230:231], -v[152:153]
	v_add_f64 v[166:167], v[45:46], -v[170:171]
	v_fma_f64 v[170:171], v[226:227], 2.0, -v[65:66]
	v_fma_f64 v[30:31], v[214:215], v[150:151], v[30:31]
	v_fma_f64 v[130:131], v[216:217], v[150:151], -v[148:149]
	ds_read_b128 v[142:145], v135
	ds_read_b128 v[146:149], v110
	;; [unrolled: 1-line block ×5, first 2 shown]
	s_waitcnt lgkmcnt(0)
	s_barrier
	buffer_gl0_inv
	ds_write_b128 v132, v[37:40]
	v_add_f64 v[37:38], v[50:51], -v[178:179]
	ds_write_b128 v132, v[22:25] offset:3840
	v_add_f64 v[39:40], v[52:53], -v[180:181]
	v_fma_f64 v[164:165], v[224:225], 2.0, -v[43:44]
	v_add_f64 v[22:23], v[54:55], -v[182:183]
	v_add_f64 v[24:25], v[56:57], -v[184:185]
	ds_write_b128 v32, v[138:141]
	ds_write_b128 v32, v[26:29] offset:3840
	v_fma_f64 v[28:29], v[47:48], 2.0, -v[168:169]
	v_fma_f64 v[174:175], v[230:231], 2.0, -v[69:70]
	;; [unrolled: 1-line block ×3, first 2 shown]
	v_add_f64 v[138:139], v[154:155], -v[204:205]
	v_add_f64 v[140:141], v[156:157], -v[121:122]
	v_fma_f64 v[45:46], v[50:51], 2.0, -v[37:38]
	v_fma_f64 v[47:48], v[52:53], 2.0, -v[39:40]
	ds_write_b128 v132, v[162:165] offset:7936
	ds_write_b128 v132, v[41:44] offset:11776
	ds_write_b128 v1, v[170:173]
	ds_write_b128 v1, v[65:68] offset:3840
	v_mul_u32_u24_e32 v1, 0x1e00, v6
	v_add_f64 v[41:42], v[117:118], -v[186:187]
	v_add_f64 v[43:44], v[119:120], -v[188:189]
	;; [unrolled: 1-line block ×4, first 2 shown]
	v_add3_u32 v1, 0, v1, v10
	ds_write_b128 v5, v[174:177] offset:15360
	ds_write_b128 v5, v[69:72] offset:19200
	v_fma_f64 v[50:51], v[54:55], 2.0, -v[22:23]
	v_add_f64 v[69:70], v[142:143], -v[194:195]
	v_add_f64 v[71:72], v[144:145], -v[196:197]
	v_fma_f64 v[52:53], v[56:57], 2.0, -v[24:25]
	v_add_f64 v[54:55], v[146:147], -v[202:203]
	v_add_f64 v[56:57], v[148:149], -v[59:60]
	ds_write_b128 v1, v[26:29]
	v_add_f64 v[26:27], v[150:151], -v[198:199]
	v_add_f64 v[28:29], v[152:153], -v[200:201]
	v_add_f64 v[162:163], v[158:159], -v[30:31]
	v_add_f64 v[164:165], v[160:161], -v[130:131]
	v_add_nc_u32_e32 v5, 0, v2
	ds_write_b128 v1, v[166:169] offset:3840
	v_add3_u32 v10, 0, v4, v3
	ds_write_b128 v5, v[45:48] offset:23040
	ds_write_b128 v5, v[37:40] offset:26880
	v_fma_f64 v[117:118], v[117:118], 2.0, -v[41:42]
	v_fma_f64 v[119:120], v[119:120], 2.0, -v[43:44]
	;; [unrolled: 1-line block ×4, first 2 shown]
	v_mul_u32_u24_e32 v30, 0x1e00, v7
	ds_write_b128 v10, v[22:25] offset:3840
	v_fma_f64 v[37:38], v[142:143], 2.0, -v[69:70]
	v_fma_f64 v[39:40], v[144:145], 2.0, -v[71:72]
	ds_write_b128 v10, v[50:53]
	v_fma_f64 v[45:46], v[146:147], 2.0, -v[54:55]
	v_fma_f64 v[47:48], v[148:149], 2.0, -v[56:57]
	v_fma_f64 v[50:51], v[154:155], 2.0, -v[138:139]
	v_fma_f64 v[5:6], v[150:151], 2.0, -v[26:27]
	v_fma_f64 v[7:8], v[152:153], 2.0, -v[28:29]
	v_fma_f64 v[52:53], v[156:157], 2.0, -v[140:141]
	v_fma_f64 v[126:127], v[158:159], 2.0, -v[162:163]
	v_fma_f64 v[128:129], v[160:161], 2.0, -v[164:165]
	v_add3_u32 v10, 0, v30, v11
	v_mul_u32_u24_e32 v11, 0x1e00, v12
	ds_write_b128 v9, v[41:44] offset:34560
	ds_write_b128 v9, v[117:120] offset:30720
	ds_write_b128 v10, v[1:4]
	ds_write_b128 v10, v[65:68] offset:3840
	v_mul_u32_u24_e32 v2, 0x1e00, v15
	v_add_nc_u32_e32 v9, 0, v13
	v_add3_u32 v1, 0, v11, v14
	v_add_nc_u32_e32 v3, 0, v16
	v_lshlrev_b64 v[67:68], 4, v[78:79]
	v_add3_u32 v2, 0, v2, v20
	ds_write_b128 v9, v[37:40] offset:38400
	ds_write_b128 v9, v[69:72] offset:42240
	ds_write_b128 v1, v[45:48]
	ds_write_b128 v1, v[54:57] offset:3840
	v_add_nc_u32_e32 v1, 0, v21
	ds_write_b128 v3, v[5:8] offset:46080
	ds_write_b128 v3, v[26:29] offset:49920
	ds_write_b128 v2, v[50:53]
	ds_write_b128 v2, v[138:141] offset:3840
	ds_write_b128 v1, v[126:129] offset:53760
	;; [unrolled: 1-line block ×3, first 2 shown]
	v_add_co_u32 v1, s0, 0x1800, v115
	v_add_co_ci_u32_e64 v2, s0, 0, v116, s0
	v_add_co_u32 v79, s0, s12, v67
	v_add_co_ci_u32_e64 v117, s0, s13, v68, s0
	v_lshlrev_b64 v[65:66], 4, v[80:81]
	v_add_co_u32 v5, s0, 0x1800, v79
	v_add_co_ci_u32_e64 v6, s0, 0, v117, s0
	v_add_nc_u32_e32 v3, 0xffffffa0, v0
	v_add_co_u32 v81, s0, s12, v65
	v_add_co_ci_u32_e64 v118, s0, s13, v66, s0
	v_cmp_gt_u32_e64 s0, 0x1e0, v104
	v_add_nc_u32_e32 v20, 0xa0, v0
	v_mov_b32_e32 v21, v62
	v_lshrrev_b32_e32 v69, 24, v19
	v_lshrrev_b32_e32 v27, 24, v18
	v_cndmask_b32_e64 v61, v3, v104, s0
	v_add_co_u32 v7, s0, 0x1800, v81
	v_lshlrev_b64 v[20:21], 4, v[20:21]
	v_add_co_ci_u32_e64 v8, s0, 0, v118, s0
	v_lshlrev_b64 v[22:23], 4, v[61:62]
	v_sub_nc_u16 v37, v94, v17
	v_mul_lo_u16 v38, 0x1e0, v27
	v_lshrrev_b32_e32 v119, 24, v36
	s_waitcnt lgkmcnt(0)
	s_barrier
	v_add_co_u32 v22, s0, s12, v22
	v_add_co_ci_u32_e64 v23, s0, s13, v23, s0
	v_add_co_u32 v24, s0, s12, v20
	v_add_co_ci_u32_e64 v25, s0, s13, v21, s0
	v_add_nc_u32_e32 v20, 0x120, v0
	v_mov_b32_e32 v21, v62
	v_add_co_u32 v22, s0, 0x1800, v22
	v_add_co_ci_u32_e64 v23, s0, 0, v23, s0
	v_lshlrev_b64 v[19:20], 4, v[20:21]
	v_mul_lo_u16 v21, 0x1e0, v69
	v_add_co_u32 v24, s0, 0x1800, v24
	v_add_co_ci_u32_e64 v25, s0, 0, v25, s0
	v_sub_nc_u16 v21, v96, v21
	v_add_co_u32 v19, s0, s12, v19
	v_add_co_ci_u32_e64 v20, s0, s13, v20, s0
	v_lshlrev_b32_sdwa v70, v58, v21 dst_sel:DWORD dst_unused:UNUSED_PAD src0_sel:DWORD src1_sel:WORD_0
	v_add_co_u32 v19, s0, 0x1800, v19
	v_add_co_ci_u32_e64 v20, s0, 0, v20, s0
	v_add_co_u32 v21, s0, s12, v70
	v_add_co_ci_u32_e64 v26, null, s13, 0, s0
	v_lshlrev_b32_sdwa v71, v58, v37 dst_sel:DWORD dst_unused:UNUSED_PAD src0_sel:DWORD src1_sel:WORD_0
	v_add_co_u32 v17, s0, 0x1800, v21
	v_sub_nc_u16 v37, v92, v38
	v_add_co_ci_u32_e64 v18, s0, 0, v26, s0
	v_add_co_u32 v38, s0, s12, v71
	v_add_co_ci_u32_e64 v39, null, s13, 0, s0
	v_lshlrev_b32_sdwa v72, v58, v37 dst_sel:DWORD dst_unused:UNUSED_PAD src0_sel:DWORD src1_sel:WORD_0
	v_add_co_u32 v37, s0, 0x1800, v38
	v_add_co_ci_u32_e64 v38, s0, 0, v39, s0
	v_add_co_u32 v36, s0, s12, v72
	v_add_co_ci_u32_e64 v39, null, s13, 0, s0
	v_mul_lo_u16 v40, 0x1e0, v119
	buffer_gl0_inv
	s_clause 0x3
	global_load_dwordx4 v[13:16], v[1:2], off offset:1376
	global_load_dwordx4 v[1:4], v[1:2], off offset:1888
	global_load_dwordx4 v[9:12], v[5:6], off offset:1376
	global_load_dwordx4 v[5:8], v[7:8], off offset:1376
	v_lshlrev_b32_sdwa v120, v58, v35 dst_sel:DWORD dst_unused:UNUSED_PAD src0_sel:DWORD src1_sel:WORD_0
	v_add_co_u32 v35, s0, 0x1800, v36
	v_add_co_ci_u32_e64 v36, s0, 0, v39, s0
	v_sub_nc_u16 v39, v88, v40
	s_clause 0x1
	global_load_dwordx4 v[29:32], v[22:23], off offset:1376
	global_load_dwordx4 v[25:28], v[24:25], off offset:1376
	v_add_co_u32 v40, s0, s12, v120
	v_add_co_ci_u32_e64 v42, null, s13, 0, s0
	v_lshlrev_b32_sdwa v121, v58, v39 dst_sel:DWORD dst_unused:UNUSED_PAD src0_sel:DWORD src1_sel:WORD_0
	v_lshrrev_b32_e32 v46, 24, v33
	v_add_co_u32 v41, s0, 0x1800, v40
	v_sub_nc_u16 v45, v86, v34
	v_add_co_ci_u32_e64 v42, s0, 0, v42, s0
	v_add_co_u32 v39, s0, s12, v121
	v_mul_lo_u16 v50, 0x1e0, v46
	v_add_co_ci_u32_e64 v40, null, s13, 0, s0
	v_lshlrev_b32_sdwa v122, v58, v45 dst_sel:DWORD dst_unused:UNUSED_PAD src0_sel:DWORD src1_sel:WORD_0
	v_add_co_u32 v43, s0, 0x1800, v39
	v_sub_nc_u16 v50, v84, v50
	v_add_co_ci_u32_e64 v44, s0, 0, v40, s0
	v_add_co_u32 v51, s0, s12, v122
	s_clause 0x1
	global_load_dwordx4 v[21:24], v[19:20], off offset:1376
	global_load_dwordx4 v[17:20], v[17:18], off offset:1376
	v_mul_lo_u16 v53, 0x1e0, v49
	v_add_co_ci_u32_e64 v52, null, s13, 0, s0
	v_lshlrev_b32_sdwa v123, v58, v50 dst_sel:DWORD dst_unused:UNUSED_PAD src0_sel:DWORD src1_sel:WORD_0
	s_clause 0x1
	global_load_dwordx4 v[37:40], v[37:38], off offset:1376
	global_load_dwordx4 v[33:36], v[35:36], off offset:1376
	v_add_co_u32 v49, s0, 0x1800, v51
	v_sub_nc_u16 v51, v82, v53
	v_add_co_ci_u32_e64 v50, s0, 0, v52, s0
	v_add_co_u32 v52, s0, s12, v123
	v_add_co_ci_u32_e64 v54, null, s13, 0, s0
	v_lshlrev_b32_sdwa v126, v58, v51 dst_sel:DWORD dst_unused:UNUSED_PAD src0_sel:DWORD src1_sel:WORD_0
	v_add_co_u32 v53, s0, 0x1800, v52
	v_add_co_ci_u32_e64 v54, s0, 0, v54, s0
	v_add_co_u32 v55, s0, s12, v126
	v_add_co_ci_u32_e64 v56, null, s13, 0, s0
	s_clause 0x1
	global_load_dwordx4 v[45:48], v[41:42], off offset:1376
	global_load_dwordx4 v[41:44], v[43:44], off offset:1376
	v_add_co_u32 v57, s0, 0x1800, v55
	v_add_co_ci_u32_e64 v58, s0, 0, v56, s0
	s_clause 0x2
	global_load_dwordx4 v[49:52], v[49:50], off offset:1376
	global_load_dwordx4 v[53:56], v[53:54], off offset:1376
	;; [unrolled: 1-line block ×3, first 2 shown]
	ds_read_b128 v[127:130], v132 offset:30720
	ds_read_b128 v[138:141], v132 offset:32768
	;; [unrolled: 1-line block ×11, first 2 shown]
	ds_read_b128 v[178:181], v132
	ds_read_b128 v[182:185], v132 offset:53248
	ds_read_b128 v[186:189], v132 offset:55296
	ds_read_b128 v[190:193], v132 offset:57344
	ds_read_b128 v[194:197], v132 offset:59392
	ds_read_b128 v[198:201], v124
	ds_read_b128 v[202:205], v125
	;; [unrolled: 1-line block ×8, first 2 shown]
	v_cmp_lt_u32_e64 s0, 0x1df, v104
	v_lshlrev_b32_e32 v61, 4, v61
	v_lshlrev_b64 v[104:105], 4, v[104:105]
	v_cndmask_b32_e64 v131, 0, 0x3c00, s0
	v_add3_u32 v61, 0, v131, v61
	s_waitcnt vmcnt(14) lgkmcnt(23)
	v_mul_f64 v[230:231], v[129:130], v[15:16]
	v_mul_f64 v[15:16], v[127:128], v[15:16]
	s_waitcnt vmcnt(12) lgkmcnt(22)
	v_mul_f64 v[232:233], v[140:141], v[11:12]
	s_waitcnt vmcnt(11) lgkmcnt(21)
	v_mul_f64 v[236:237], v[144:145], v[7:8]
	v_mul_f64 v[234:235], v[138:139], v[11:12]
	;; [unrolled: 1-line block ×3, first 2 shown]
	s_waitcnt lgkmcnt(19)
	v_mul_f64 v[240:241], v[152:153], v[3:4]
	v_mul_f64 v[242:243], v[150:151], v[3:4]
	s_waitcnt vmcnt(10)
	v_mul_f64 v[238:239], v[148:149], v[31:32]
	v_mul_f64 v[31:32], v[146:147], v[31:32]
	s_waitcnt vmcnt(9) lgkmcnt(18)
	v_mul_f64 v[246:247], v[154:155], v[27:28]
	v_fma_f64 v[230:231], v[127:128], v[13:14], v[230:231]
	v_fma_f64 v[244:245], v[129:130], v[13:14], -v[15:16]
	v_mul_f64 v[15:16], v[156:157], v[27:28]
	v_fma_f64 v[142:143], v[142:143], v[5:6], v[236:237]
	v_fma_f64 v[232:233], v[138:139], v[9:10], v[232:233]
	v_fma_f64 v[234:235], v[140:141], v[9:10], -v[234:235]
	v_fma_f64 v[144:145], v[144:145], v[5:6], -v[7:8]
	ds_read_b128 v[11:14], v137
	ds_read_b128 v[127:130], v135
	;; [unrolled: 1-line block ×4, first 2 shown]
	v_fma_f64 v[146:147], v[146:147], v[29:30], v[238:239]
	v_fma_f64 v[31:32], v[148:149], v[29:30], -v[31:32]
	v_fma_f64 v[148:149], v[150:151], v[1:2], v[240:241]
	s_waitcnt vmcnt(8) lgkmcnt(21)
	v_mul_f64 v[236:237], v[160:161], v[23:24]
	v_mul_f64 v[23:24], v[158:159], v[23:24]
	s_waitcnt vmcnt(7) lgkmcnt(20)
	v_mul_f64 v[248:249], v[164:165], v[19:20]
	v_mul_f64 v[19:20], v[162:163], v[19:20]
	v_fma_f64 v[1:2], v[152:153], v[1:2], -v[242:243]
	s_waitcnt vmcnt(6) lgkmcnt(19)
	v_mul_f64 v[150:151], v[168:169], v[39:40]
	s_waitcnt vmcnt(5) lgkmcnt(18)
	v_mul_f64 v[152:153], v[172:173], v[35:36]
	v_mul_f64 v[35:36], v[170:171], v[35:36]
	v_mul_f64 v[39:40], v[166:167], v[39:40]
	v_fma_f64 v[156:157], v[156:157], v[25:26], -v[246:247]
	ds_read_b128 v[27:30], v106
	ds_read_b128 v[138:141], v73
	s_waitcnt vmcnt(0) lgkmcnt(0)
	v_fma_f64 v[154:155], v[154:155], v[25:26], v[15:16]
	v_add_f64 v[15:16], v[178:179], -v[230:231]
	s_barrier
	buffer_gl0_inv
	v_add_f64 v[25:26], v[204:205], -v[144:145]
	v_add_f64 v[144:145], v[208:209], -v[31:32]
	;; [unrolled: 1-line block ×3, first 2 shown]
	v_fma_f64 v[158:159], v[158:159], v[21:22], v[236:237]
	v_fma_f64 v[160:161], v[160:161], v[21:22], -v[23:24]
	v_mul_f64 v[238:239], v[176:177], v[47:48]
	v_mul_f64 v[47:48], v[174:175], v[47:48]
	;; [unrolled: 1-line block ×4, first 2 shown]
	v_fma_f64 v[162:163], v[162:163], v[17:18], v[248:249]
	v_fma_f64 v[164:165], v[164:165], v[17:18], -v[19:20]
	v_add_f64 v[17:18], v[180:181], -v[244:245]
	v_add_f64 v[19:20], v[198:199], -v[232:233]
	v_add_f64 v[21:22], v[200:201], -v[234:235]
	v_add_f64 v[23:24], v[202:203], -v[142:143]
	v_mul_f64 v[236:237], v[188:189], v[51:52]
	v_mul_f64 v[51:52], v[186:187], v[51:52]
	;; [unrolled: 1-line block ×6, first 2 shown]
	v_fma_f64 v[170:171], v[170:171], v[33:34], v[152:153]
	v_fma_f64 v[172:173], v[172:173], v[33:34], -v[35:36]
	v_add_f64 v[33:34], v[212:213], -v[1:2]
	v_add_f64 v[142:143], v[206:207], -v[146:147]
	v_fma_f64 v[166:167], v[166:167], v[37:38], v[150:151]
	v_fma_f64 v[168:169], v[168:169], v[37:38], -v[39:40]
	v_add_f64 v[35:36], v[11:12], -v[154:155]
	v_add_f64 v[37:38], v[13:14], -v[156:157]
	v_fma_f64 v[174:175], v[174:175], v[45:46], v[238:239]
	v_fma_f64 v[176:177], v[176:177], v[45:46], -v[47:48]
	v_fma_f64 v[182:183], v[182:183], v[41:42], v[240:241]
	v_fma_f64 v[184:185], v[184:185], v[41:42], -v[43:44]
	v_add_f64 v[39:40], v[214:215], -v[158:159]
	v_fma_f64 v[43:44], v[178:179], 2.0, -v[15:16]
	v_fma_f64 v[45:46], v[180:181], 2.0, -v[17:18]
	v_add_f64 v[41:42], v[216:217], -v[160:161]
	v_fma_f64 v[146:147], v[198:199], 2.0, -v[19:20]
	v_fma_f64 v[148:149], v[200:201], 2.0, -v[21:22]
	;; [unrolled: 1-line block ×4, first 2 shown]
	v_fma_f64 v[186:187], v[186:187], v[49:50], v[236:237]
	v_fma_f64 v[1:2], v[188:189], v[49:50], -v[51:52]
	v_fma_f64 v[160:161], v[192:193], v[53:54], -v[55:56]
	v_fma_f64 v[178:179], v[194:195], v[57:58], v[246:247]
	v_fma_f64 v[59:60], v[196:197], v[57:58], -v[59:60]
	v_fma_f64 v[55:56], v[210:211], 2.0, -v[31:32]
	v_fma_f64 v[57:58], v[212:213], 2.0, -v[33:34]
	v_fma_f64 v[154:155], v[206:207], 2.0, -v[142:143]
	v_fma_f64 v[156:157], v[208:209], 2.0, -v[144:145]
	v_fma_f64 v[158:159], v[190:191], v[53:54], v[242:243]
	v_add_f64 v[47:48], v[218:219], -v[162:163]
	v_add_f64 v[49:50], v[220:221], -v[164:165]
	;; [unrolled: 1-line block ×4, first 2 shown]
	v_fma_f64 v[11:12], v[11:12], 2.0, -v[35:36]
	v_fma_f64 v[13:14], v[13:14], 2.0, -v[37:38]
	ds_write_b128 v132, v[15:18] offset:7680
	v_fma_f64 v[15:16], v[214:215], 2.0, -v[39:40]
	ds_write_b128 v132, v[43:46]
	ds_write_b128 v124, v[146:149]
	ds_write_b128 v124, v[19:22] offset:7680
	ds_write_b128 v125, v[150:153]
	ds_write_b128 v125, v[23:26] offset:7680
	ds_write_b128 v61, v[154:157]
	v_fma_f64 v[17:18], v[216:217], 2.0, -v[41:42]
	v_add_f64 v[19:20], v[226:227], -v[170:171]
	v_add_f64 v[21:22], v[228:229], -v[172:173]
	;; [unrolled: 1-line block ×4, first 2 shown]
	ds_write_b128 v61, v[142:145] offset:7680
	v_add_f64 v[142:143], v[3:4], -v[182:183]
	v_add_f64 v[144:145], v[5:6], -v[184:185]
	ds_write_b128 v132, v[55:58] offset:15872
	v_add_f64 v[55:56], v[7:8], -v[186:187]
	v_add_f64 v[57:58], v[9:10], -v[1:2]
	;; [unrolled: 1-line block ×6, first 2 shown]
	v_fma_f64 v[43:44], v[218:219], 2.0, -v[47:48]
	v_fma_f64 v[45:46], v[220:221], 2.0, -v[49:50]
	ds_write_b128 v132, v[31:34] offset:23552
	ds_write_b128 v132, v[11:14] offset:17920
	;; [unrolled: 1-line block ×3, first 2 shown]
	v_fma_f64 v[11:12], v[222:223], 2.0, -v[51:52]
	v_fma_f64 v[13:14], v[224:225], 2.0, -v[53:54]
	v_mul_u32_u24_e32 v35, 0x3c00, v69
	ds_write_b128 v132, v[39:42] offset:27648
	ds_write_b128 v132, v[15:18] offset:19968
	v_fma_f64 v[15:16], v[226:227], 2.0, -v[19:20]
	v_fma_f64 v[17:18], v[228:229], 2.0, -v[21:22]
	;; [unrolled: 1-line block ×4, first 2 shown]
	v_add3_u32 v39, 0, v35, v70
	v_fma_f64 v[1:2], v[3:4], 2.0, -v[142:143]
	v_fma_f64 v[3:4], v[5:6], 2.0, -v[144:145]
	v_add_nc_u32_e32 v40, 0, v71
	v_fma_f64 v[5:6], v[7:8], 2.0, -v[55:56]
	v_fma_f64 v[7:8], v[9:10], 2.0, -v[57:58]
	;; [unrolled: 1-line block ×6, first 2 shown]
	v_mul_u32_u24_e32 v10, 0x3c00, v119
	v_add_nc_u32_e32 v9, 0, v72
	ds_write_b128 v39, v[43:46]
	ds_write_b128 v39, v[47:50] offset:7680
	v_lshlrev_b64 v[71:72], 4, v[98:99]
	ds_write_b128 v40, v[11:14] offset:30720
	v_add_nc_u32_e32 v11, 0, v120
	v_add3_u32 v10, 0, v10, v121
	ds_write_b128 v40, v[51:54] offset:38400
	ds_write_b128 v9, v[15:18] offset:30720
	;; [unrolled: 1-line block ×5, first 2 shown]
	v_add_nc_u32_e32 v9, 0, v122
	ds_write_b128 v10, v[142:145] offset:7680
	v_lshlrev_b64 v[69:70], 4, v[100:101]
	ds_write_b128 v10, v[1:4]
	v_add_nc_u32_e32 v1, 0, v123
	v_add_nc_u32_e32 v2, 0, v126
	ds_write_b128 v9, v[5:8] offset:46080
	ds_write_b128 v9, v[55:58] offset:53760
	;; [unrolled: 1-line block ×6, first 2 shown]
	v_add_co_u32 v1, s0, 0x3800, v115
	v_add_co_ci_u32_e64 v2, s0, 0, v116, s0
	v_add_co_u32 v5, s0, 0x3800, v79
	v_add_co_ci_u32_e64 v6, s0, 0, v117, s0
	;; [unrolled: 2-line block ×4, first 2 shown]
	v_add_nc_u32_e32 v23, 0xfffffc40, v96
	v_add_co_u32 v17, s0, 0x3800, v121
	v_add_co_ci_u32_e64 v18, s0, 0, v122, s0
	v_add_co_u32 v119, s0, s12, v102
	v_add_co_ci_u32_e64 v120, s0, s13, v103, s0
	v_add_nc_u32_e32 v35, 0xc0, v0
	v_add_co_u32 v19, s0, 0x3800, v119
	v_add_co_ci_u32_e64 v20, s0, 0, v120, s0
	v_add_co_u32 v98, s0, s12, v71
	v_add_co_ci_u32_e64 v99, s0, s13, v72, s0
	v_mov_b32_e32 v36, v62
	v_add_co_u32 v21, s0, 0x3800, v98
	v_add_co_ci_u32_e64 v22, s0, 0, v99, s0
	v_add_co_u32 v100, s0, s12, v69
	v_add_co_ci_u32_e64 v101, s0, s13, v70, s0
	v_cmp_gt_u32_e64 s0, 0x3c0, v96
	s_waitcnt lgkmcnt(0)
	s_barrier
	buffer_gl0_inv
	s_clause 0x3
	global_load_dwordx4 v[13:16], v[1:2], off offset:864
	global_load_dwordx4 v[1:4], v[1:2], off offset:1888
	;; [unrolled: 1-line block ×4, first 2 shown]
	v_cndmask_b32_e64 v61, v23, v96, s0
	v_add_co_u32 v33, s0, 0x3800, v100
	v_add_co_ci_u32_e64 v34, s0, 0, v101, s0
	v_lshlrev_b64 v[37:38], 4, v[61:62]
	s_clause 0x3
	global_load_dwordx4 v[29:32], v[17:18], off offset:864
	global_load_dwordx4 v[25:28], v[19:20], off offset:864
	;; [unrolled: 1-line block ×4, first 2 shown]
	v_lshlrev_b64 v[33:34], 4, v[35:36]
	v_add_nc_u32_e32 v51, 0x2c0, v0
	v_mov_b32_e32 v52, v62
	v_lshlrev_b32_e32 v61, 4, v61
	v_add_co_u32 v35, s0, s12, v37
	v_add_co_ci_u32_e64 v36, s0, s13, v38, s0
	v_add_co_u32 v39, s0, s12, v33
	v_add_co_ci_u32_e64 v40, s0, s13, v34, s0
	v_add_nc_u32_e32 v33, 0x140, v0
	v_mov_b32_e32 v34, v62
	v_add_nc_u32_e32 v37, 0x1c0, v0
	v_mov_b32_e32 v38, v62
	v_add_co_u32 v35, s0, 0x3800, v35
	v_lshlrev_b64 v[33:34], 4, v[33:34]
	v_add_co_ci_u32_e64 v36, s0, 0, v36, s0
	v_add_co_u32 v39, s0, 0x3800, v39
	v_lshlrev_b64 v[37:38], 4, v[37:38]
	v_add_co_ci_u32_e64 v40, s0, 0, v40, s0
	v_add_co_u32 v33, s0, s12, v33
	v_add_co_ci_u32_e64 v34, s0, s13, v34, s0
	v_add_co_u32 v41, s0, s12, v37
	v_add_co_ci_u32_e64 v42, s0, s13, v38, s0
	v_add_nc_u32_e32 v37, 0x240, v0
	v_mov_b32_e32 v38, v62
	v_add_co_u32 v33, s0, 0x3800, v33
	v_add_co_ci_u32_e64 v34, s0, 0, v34, s0
	v_lshlrev_b64 v[53:54], 4, v[37:38]
	v_add_co_u32 v49, s0, 0x3800, v41
	v_add_co_ci_u32_e64 v50, s0, 0, v42, s0
	s_clause 0x3
	global_load_dwordx4 v[45:48], v[35:36], off offset:864
	global_load_dwordx4 v[41:44], v[39:40], off offset:864
	global_load_dwordx4 v[37:40], v[33:34], off offset:864
	global_load_dwordx4 v[33:36], v[49:50], off offset:864
	v_lshlrev_b64 v[49:50], 4, v[51:52]
	v_add_co_u32 v53, s0, s12, v53
	v_add_nc_u32_e32 v51, 0x340, v0
	v_add_co_ci_u32_e64 v54, s0, s13, v54, s0
	v_add_co_u32 v53, s0, 0x3800, v53
	v_lshlrev_b64 v[55:56], 4, v[51:52]
	v_add_co_ci_u32_e64 v54, s0, 0, v54, s0
	v_add_co_u32 v57, s0, s12, v49
	v_add_co_ci_u32_e64 v58, s0, s13, v50, s0
	v_add_co_u32 v55, s0, s12, v55
	v_add_co_ci_u32_e64 v56, s0, s13, v56, s0
	global_load_dwordx4 v[49:52], v[53:54], off offset:864
	v_add_co_u32 v53, s0, 0x3800, v57
	v_add_co_ci_u32_e64 v54, s0, 0, v58, s0
	v_add_co_u32 v57, s0, 0x3800, v55
	v_add_co_ci_u32_e64 v58, s0, 0, v56, s0
	s_clause 0x1
	global_load_dwordx4 v[53:56], v[53:54], off offset:864
	global_load_dwordx4 v[57:60], v[57:58], off offset:864
	ds_read_b128 v[126:129], v132 offset:30720
	ds_read_b128 v[138:141], v132 offset:32768
	v_cmp_lt_u32_e64 s0, 0x3bf, v96
	v_cndmask_b32_e64 v62, 0, 0x7800, s0
	v_add_co_u32 v130, s0, 0x7000, v115
	v_add_co_ci_u32_e64 v131, s0, 0, v116, s0
	v_add_co_u32 v234, s0, 0x7000, v79
	v_add3_u32 v79, 0, v62, v61
	v_add_co_ci_u32_e64 v235, s0, 0, v117, s0
	v_add_co_u32 v236, s0, 0x7000, v81
	v_add_co_ci_u32_e64 v237, s0, 0, v118, s0
	ds_read_b128 v[115:118], v132 offset:34816
	ds_read_b128 v[142:145], v132 offset:36864
	;; [unrolled: 1-line block ×9, first 2 shown]
	ds_read_b128 v[174:177], v132
	ds_read_b128 v[178:181], v132 offset:53248
	ds_read_b128 v[182:185], v132 offset:55296
	;; [unrolled: 1-line block ×4, first 2 shown]
	ds_read_b128 v[194:197], v124
	ds_read_b128 v[198:201], v125
	;; [unrolled: 1-line block ×10, first 2 shown]
	s_waitcnt vmcnt(14) lgkmcnt(25)
	v_mul_f64 v[61:62], v[128:129], v[15:16]
	v_mul_f64 v[15:16], v[126:127], v[15:16]
	s_waitcnt vmcnt(12) lgkmcnt(24)
	v_mul_f64 v[238:239], v[140:141], v[11:12]
	v_mul_f64 v[11:12], v[138:139], v[11:12]
	;; [unrolled: 3-line block ×4, first 2 shown]
	s_waitcnt vmcnt(9) lgkmcnt(21)
	v_mul_f64 v[244:245], v[148:149], v[27:28]
	v_fma_f64 v[61:62], v[126:127], v[13:14], v[61:62]
	v_fma_f64 v[126:127], v[128:129], v[13:14], -v[15:16]
	v_mul_f64 v[13:14], v[146:147], v[27:28]
	s_waitcnt vmcnt(8) lgkmcnt(20)
	v_mul_f64 v[15:16], v[152:153], v[23:24]
	v_mul_f64 v[23:24], v[150:151], v[23:24]
	s_waitcnt vmcnt(7) lgkmcnt(19)
	v_mul_f64 v[27:28], v[156:157], v[19:20]
	v_fma_f64 v[128:129], v[138:139], v[9:10], v[238:239]
	v_fma_f64 v[138:139], v[140:141], v[9:10], -v[11:12]
	v_mul_f64 v[9:10], v[154:155], v[19:20]
	s_waitcnt lgkmcnt(17)
	v_mul_f64 v[140:141], v[162:163], v[3:4]
	v_fma_f64 v[115:116], v[115:116], v[5:6], v[240:241]
	v_fma_f64 v[142:143], v[142:143], v[29:30], v[242:243]
	v_fma_f64 v[144:145], v[144:145], v[29:30], -v[31:32]
	v_fma_f64 v[146:147], v[146:147], v[25:26], v[244:245]
	v_fma_f64 v[117:118], v[117:118], v[5:6], -v[7:8]
	v_fma_f64 v[148:149], v[148:149], v[25:26], -v[13:14]
	v_fma_f64 v[150:151], v[150:151], v[21:22], v[15:16]
	v_fma_f64 v[152:153], v[152:153], v[21:22], -v[23:24]
	s_waitcnt lgkmcnt(9)
	v_add_f64 v[23:24], v[194:195], -v[128:129]
	s_waitcnt vmcnt(6)
	v_mul_f64 v[11:12], v[160:161], v[47:48]
	v_mul_f64 v[19:20], v[158:159], v[47:48]
	v_mul_f64 v[47:48], v[164:165], v[3:4]
	s_waitcnt vmcnt(5)
	v_mul_f64 v[238:239], v[168:169], v[43:44]
	v_mul_f64 v[43:44], v[166:167], v[43:44]
	s_waitcnt vmcnt(4)
	v_mul_f64 v[240:241], v[172:173], v[39:40]
	v_mul_f64 v[29:30], v[170:171], v[39:40]
	;; [unrolled: 3-line block ×6, first 2 shown]
	v_fma_f64 v[59:60], v[154:155], v[17:18], v[27:28]
	v_fma_f64 v[154:155], v[156:157], v[17:18], -v[9:10]
	v_fma_f64 v[156:157], v[158:159], v[45:46], v[11:12]
	v_fma_f64 v[158:159], v[160:161], v[45:46], -v[19:20]
	;; [unrolled: 2-line block ×7, first 2 shown]
	v_add_f64 v[19:20], v[174:175], -v[61:62]
	ds_read_b128 v[3:6], v110
	ds_read_b128 v[7:10], v107
	;; [unrolled: 1-line block ×4, first 2 shown]
	v_add_f64 v[25:26], v[196:197], -v[138:139]
	v_fma_f64 v[180:181], v[186:187], v[53:54], v[51:52]
	v_fma_f64 v[182:183], v[188:189], v[53:54], -v[55:56]
	v_fma_f64 v[184:185], v[190:191], v[57:58], v[242:243]
	v_fma_f64 v[186:187], v[192:193], v[57:58], -v[21:22]
	v_add_f64 v[21:22], v[176:177], -v[126:127]
	s_waitcnt lgkmcnt(12)
	v_add_f64 v[27:28], v[198:199], -v[115:116]
	v_add_f64 v[29:30], v[200:201], -v[117:118]
	s_waitcnt lgkmcnt(11)
	v_add_f64 v[31:32], v[202:203], -v[142:143]
	;; [unrolled: 3-line block ×4, first 2 shown]
	v_add_f64 v[41:42], v[220:221], -v[152:153]
	v_add_f64 v[43:44], v[210:211], -v[59:60]
	;; [unrolled: 1-line block ×5, first 2 shown]
	s_waitcnt lgkmcnt(5)
	v_add_f64 v[51:52], v[226:227], -v[160:161]
	v_add_f64 v[53:54], v[228:229], -v[1:2]
	s_waitcnt lgkmcnt(4)
	v_add_f64 v[55:56], v[230:231], -v[140:141]
	v_add_f64 v[57:58], v[232:233], -v[162:163]
	;; [unrolled: 1-line block ×4, first 2 shown]
	s_waitcnt lgkmcnt(3)
	v_add_f64 v[115:116], v[3:4], -v[168:169]
	v_add_f64 v[117:118], v[5:6], -v[170:171]
	s_waitcnt lgkmcnt(2)
	v_add_f64 v[126:127], v[7:8], -v[172:173]
	v_add_f64 v[128:129], v[9:10], -v[178:179]
	;; [unrolled: 3-line block ×4, first 2 shown]
	v_fma_f64 v[146:147], v[174:175], 2.0, -v[19:20]
	v_fma_f64 v[148:149], v[176:177], 2.0, -v[21:22]
	;; [unrolled: 1-line block ×16, first 2 shown]
	s_barrier
	buffer_gl0_inv
	ds_write_b128 v132, v[19:22] offset:15360
	v_fma_f64 v[19:20], v[226:227], 2.0, -v[51:52]
	v_fma_f64 v[21:22], v[228:229], 2.0, -v[53:54]
	;; [unrolled: 1-line block ×14, first 2 shown]
	ds_write_b128 v132, v[146:149]
	ds_write_b128 v124, v[150:153]
	ds_write_b128 v124, v[23:26] offset:15360
	ds_write_b128 v125, v[154:157]
	ds_write_b128 v125, v[27:30] offset:15360
	;; [unrolled: 2-line block ×7, first 2 shown]
	ds_write_b128 v132, v[19:22] offset:31744
	ds_write_b128 v132, v[51:54] offset:47104
	ds_write_b128 v132, v[178:181] offset:33792
	ds_write_b128 v132, v[55:58] offset:49152
	ds_write_b128 v132, v[182:185] offset:35840
	ds_write_b128 v132, v[59:62] offset:51200
	ds_write_b128 v132, v[1:4] offset:37888
	ds_write_b128 v132, v[115:118] offset:53248
	ds_write_b128 v132, v[5:8] offset:39936
	ds_write_b128 v132, v[126:129] offset:55296
	ds_write_b128 v132, v[9:12] offset:41984
	ds_write_b128 v132, v[138:141] offset:57344
	ds_write_b128 v132, v[13:16] offset:44032
	ds_write_b128 v132, v[142:145] offset:59392
	v_add_co_u32 v13, s0, 0x7000, v121
	v_add_co_ci_u32_e64 v14, s0, 0, v122, s0
	s_waitcnt lgkmcnt(0)
	s_barrier
	buffer_gl0_inv
	s_clause 0x3
	global_load_dwordx4 v[1:4], v[130:131], off offset:1888
	global_load_dwordx4 v[5:8], v[234:235], off offset:1888
	;; [unrolled: 1-line block ×4, first 2 shown]
	v_add_co_u32 v13, s0, 0x7000, v119
	v_lshlrev_b64 v[27:28], 4, v[96:97]
	v_add_co_ci_u32_e64 v14, s0, 0, v120, s0
	v_add_co_u32 v15, s0, 0x7000, v98
	v_add_co_ci_u32_e64 v16, s0, 0, v99, s0
	v_add_co_u32 v19, s0, s12, v27
	;; [unrolled: 2-line block ×3, first 2 shown]
	v_lshlrev_b64 v[25:26], 4, v[94:95]
	v_add_co_ci_u32_e64 v18, s0, 0, v101, s0
	v_add_co_u32 v19, s0, 0x7000, v19
	v_add_co_ci_u32_e64 v20, s0, 0, v20, s0
	s_clause 0x3
	global_load_dwordx4 v[33:36], v[13:14], off offset:1888
	global_load_dwordx4 v[37:40], v[15:16], off offset:1888
	;; [unrolled: 1-line block ×4, first 2 shown]
	v_add_co_u32 v13, s0, s12, v25
	v_add_co_ci_u32_e64 v14, s0, s13, v26, s0
	v_lshlrev_b64 v[23:24], 4, v[92:93]
	v_add_co_u32 v13, s0, 0x7000, v13
	v_add_co_ci_u32_e64 v14, s0, 0, v14, s0
	v_lshlrev_b64 v[21:22], 4, v[90:91]
	;; [unrolled: 3-line block ×3, first 2 shown]
	v_add_co_u32 v15, s0, 0x7000, v15
	v_add_co_ci_u32_e64 v16, s0, 0, v16, s0
	v_add_co_u32 v17, s0, s12, v21
	v_add_co_ci_u32_e64 v18, s0, s13, v22, s0
	;; [unrolled: 2-line block ×4, first 2 shown]
	v_lshlrev_b64 v[17:18], 4, v[86:87]
	v_add_co_u32 v61, s0, 0x7000, v49
	v_add_co_ci_u32_e64 v62, s0, 0, v50, s0
	s_clause 0x3
	global_load_dwordx4 v[49:52], v[13:14], off offset:1888
	global_load_dwordx4 v[53:56], v[15:16], off offset:1888
	;; [unrolled: 1-line block ×4, first 2 shown]
	v_add_co_u32 v13, s0, s12, v17
	v_add_co_ci_u32_e64 v14, s0, s13, v18, s0
	v_lshlrev_b64 v[15:16], 4, v[84:85]
	v_add_co_u32 v61, s0, 0x7000, v13
	v_add_co_ci_u32_e64 v62, s0, 0, v14, s0
	v_lshlrev_b64 v[13:14], 4, v[82:83]
	v_add_co_u32 v79, s0, s12, v15
	v_add_co_ci_u32_e64 v81, s0, s13, v16, s0
	v_add_co_u32 v90, s0, 0x7000, v79
	v_add_co_ci_u32_e64 v91, s0, 0, v81, s0
	;; [unrolled: 2-line block ×3, first 2 shown]
	global_load_dwordx4 v[81:84], v[61:62], off offset:1888
	v_add_co_u32 v61, s0, 0x7000, v79
	v_add_co_ci_u32_e64 v62, s0, 0, v85, s0
	s_clause 0x1
	global_load_dwordx4 v[90:93], v[90:91], off offset:1888
	global_load_dwordx4 v[94:97], v[61:62], off offset:1888
	ds_read_b128 v[98:101], v132 offset:30720
	ds_read_b128 v[115:118], v132 offset:32768
	;; [unrolled: 1-line block ×15, first 2 shown]
	ds_read_b128 v[182:185], v132
	ds_read_b128 v[186:189], v124
	;; [unrolled: 1-line block ×13, first 2 shown]
	s_waitcnt vmcnt(14) lgkmcnt(27)
	v_mul_f64 v[61:62], v[100:101], v[3:4]
	v_mul_f64 v[3:4], v[98:99], v[3:4]
	s_waitcnt vmcnt(13) lgkmcnt(26)
	v_mul_f64 v[130:131], v[117:118], v[7:8]
	s_waitcnt vmcnt(12) lgkmcnt(25)
	v_mul_f64 v[234:235], v[121:122], v[11:12]
	v_mul_f64 v[11:12], v[119:120], v[11:12]
	s_waitcnt vmcnt(11) lgkmcnt(24)
	v_mul_f64 v[236:237], v[128:129], v[31:32]
	v_mul_f64 v[31:32], v[126:127], v[31:32]
	;; [unrolled: 1-line block ×3, first 2 shown]
	v_fma_f64 v[61:62], v[98:99], v[1:2], v[61:62]
	s_waitcnt vmcnt(10) lgkmcnt(23)
	v_mul_f64 v[238:239], v[140:141], v[35:36]
	v_mul_f64 v[35:36], v[138:139], v[35:36]
	s_waitcnt vmcnt(9) lgkmcnt(22)
	v_mul_f64 v[240:241], v[144:145], v[39:40]
	v_mul_f64 v[39:40], v[142:143], v[39:40]
	;; [unrolled: 3-line block ×3, first 2 shown]
	v_fma_f64 v[98:99], v[100:101], v[1:2], -v[3:4]
	s_waitcnt vmcnt(7) lgkmcnt(20)
	v_mul_f64 v[100:101], v[152:153], v[47:48]
	v_mul_f64 v[47:48], v[150:151], v[47:48]
	v_fma_f64 v[115:116], v[115:116], v[5:6], v[130:131]
	v_fma_f64 v[119:120], v[119:120], v[9:10], v[234:235]
	v_fma_f64 v[121:122], v[121:122], v[9:10], -v[11:12]
	v_fma_f64 v[126:127], v[126:127], v[29:30], v[236:237]
	v_fma_f64 v[128:129], v[128:129], v[29:30], -v[31:32]
	v_fma_f64 v[117:118], v[117:118], v[5:6], -v[7:8]
	ds_read_b128 v[1:4], v106
	ds_read_b128 v[5:8], v73
	s_waitcnt vmcnt(0) lgkmcnt(0)
	s_barrier
	buffer_gl0_inv
	v_fma_f64 v[138:139], v[138:139], v[33:34], v[238:239]
	v_fma_f64 v[140:141], v[140:141], v[33:34], -v[35:36]
	v_fma_f64 v[100:101], v[150:151], v[45:46], v[100:101]
	v_add_f64 v[35:36], v[192:193], -v[121:122]
	v_mul_f64 v[244:245], v[156:157], v[51:52]
	v_mul_f64 v[51:52], v[154:155], v[51:52]
	;; [unrolled: 1-line block ×8, first 2 shown]
	v_fma_f64 v[150:151], v[154:155], v[49:50], v[244:245]
	v_fma_f64 v[130:131], v[158:159], v[53:54], v[130:131]
	v_fma_f64 v[154:155], v[160:161], v[53:54], -v[55:56]
	v_add_f64 v[53:54], v[206:207], -v[100:101]
	v_mul_f64 v[88:89], v[172:173], v[83:84]
	v_mul_f64 v[29:30], v[170:171], v[83:84]
	v_fma_f64 v[158:159], v[164:165], v[57:58], -v[9:10]
	v_fma_f64 v[160:161], v[166:167], v[86:87], v[11:12]
	v_add_f64 v[9:10], v[182:183], -v[61:62]
	v_add_f64 v[11:12], v[184:185], -v[98:99]
	v_mul_f64 v[31:32], v[176:177], v[92:93]
	v_mul_f64 v[83:84], v[174:175], v[92:93]
	;; [unrolled: 1-line block ×4, first 2 shown]
	v_fma_f64 v[96:97], v[142:143], v[37:38], v[240:241]
	v_fma_f64 v[142:143], v[144:145], v[37:38], -v[39:40]
	v_fma_f64 v[144:145], v[146:147], v[41:42], v[242:243]
	v_fma_f64 v[146:147], v[148:149], v[41:42], -v[43:44]
	v_fma_f64 v[148:149], v[152:153], v[45:46], -v[47:48]
	;; [unrolled: 1-line block ×3, first 2 shown]
	v_fma_f64 v[156:157], v[162:163], v[57:58], v[246:247]
	v_fma_f64 v[162:163], v[168:169], v[86:87], -v[59:60]
	v_add_f64 v[37:38], v[194:195], -v[126:127]
	v_add_f64 v[39:40], v[196:197], -v[128:129]
	;; [unrolled: 1-line block ×4, first 2 shown]
	v_fma_f64 v[164:165], v[170:171], v[81:82], v[88:89]
	v_fma_f64 v[166:167], v[172:173], v[81:82], -v[29:30]
	v_add_f64 v[29:30], v[186:187], -v[115:116]
	v_add_f64 v[57:58], v[210:211], -v[150:151]
	;; [unrolled: 1-line block ×4, first 2 shown]
	v_fma_f64 v[168:169], v[174:175], v[90:91], v[31:32]
	v_fma_f64 v[170:171], v[176:177], v[90:91], -v[83:84]
	v_fma_f64 v[172:173], v[178:179], v[94:95], v[92:93]
	v_fma_f64 v[174:175], v[180:181], v[94:95], -v[33:34]
	v_add_f64 v[31:32], v[188:189], -v[117:118]
	v_add_f64 v[33:34], v[190:191], -v[119:120]
	;; [unrolled: 1-line block ×14, first 2 shown]
	v_fma_f64 v[119:120], v[182:183], 2.0, -v[9:10]
	v_fma_f64 v[121:122], v[184:185], 2.0, -v[11:12]
	;; [unrolled: 1-line block ×3, first 2 shown]
	ds_write_b128 v132, v[9:12] offset:30720
	v_add_f64 v[97:98], v[1:2], -v[168:169]
	v_add_f64 v[99:100], v[3:4], -v[170:171]
	;; [unrolled: 1-line block ×4, first 2 shown]
	v_fma_f64 v[128:129], v[188:189], 2.0, -v[31:32]
	v_fma_f64 v[9:10], v[190:191], 2.0, -v[33:34]
	;; [unrolled: 1-line block ×27, first 2 shown]
	ds_write_b128 v132, v[119:122]
	ds_write_b128 v124, v[126:129]
	ds_write_b128 v124, v[29:32] offset:30720
	ds_write_b128 v125, v[9:12]
	ds_write_b128 v125, v[33:36] offset:30720
	ds_write_b128 v109, v[138:141]
	ds_write_b128 v109, v[37:40] offset:30720
	ds_write_b128 v108, v[142:145]
	ds_write_b128 v108, v[41:44] offset:30720
	ds_write_b128 v137, v[146:149]
	ds_write_b128 v137, v[45:48] offset:30720
	ds_write_b128 v114, v[150:153]
	ds_write_b128 v114, v[49:52] offset:30720
	ds_write_b128 v113, v[154:157]
	ds_write_b128 v113, v[53:56] offset:30720
	ds_write_b128 v112, v[158:161]
	ds_write_b128 v112, v[57:60] offset:30720
	ds_write_b128 v111, v[162:165]
	ds_write_b128 v111, v[81:84] offset:30720
	ds_write_b128 v135, v[166:169]
	ds_write_b128 v135, v[85:88] offset:30720
	ds_write_b128 v110, v[170:173]
	ds_write_b128 v110, v[89:92] offset:30720
	ds_write_b128 v107, v[174:177]
	ds_write_b128 v107, v[93:96] offset:30720
	ds_write_b128 v106, v[1:4]
	ds_write_b128 v106, v[97:100] offset:30720
	ds_write_b128 v73, v[5:8]
	ds_write_b128 v73, v[115:118] offset:30720
	s_waitcnt lgkmcnt(0)
	s_barrier
	buffer_gl0_inv
	ds_read_b128 v[9:12], v132
	v_sub_nc_u32_e32 v29, 0, v133
                                        ; implicit-def: $vgpr3_vgpr4
                                        ; implicit-def: $vgpr7_vgpr8
	v_cmpx_ne_u32_e32 0, v0
	s_xor_b32 s5, exec_lo, s5
	s_cbranch_execz .LBB0_15
; %bb.14:
	v_add_co_u32 v1, s0, s1, v63
	v_add_co_ci_u32_e64 v2, s0, s4, v64, s0
	ds_read_b128 v[30:33], v29 offset:61440
	global_load_dwordx4 v[3:6], v[1:2], off
	s_waitcnt lgkmcnt(0)
	v_add_f64 v[1:2], v[9:10], -v[30:31]
	v_add_f64 v[7:8], v[11:12], v[32:33]
	v_add_f64 v[11:12], v[11:12], -v[32:33]
	v_mul_f64 v[32:33], v[1:2], 0.5
	v_add_f64 v[1:2], v[9:10], v[30:31]
	v_mul_f64 v[9:10], v[7:8], 0.5
	v_mul_f64 v[7:8], v[11:12], 0.5
	s_waitcnt vmcnt(0)
	v_mul_f64 v[11:12], v[32:33], v[5:6]
	v_fma_f64 v[30:31], v[9:10], v[5:6], v[7:8]
	v_fma_f64 v[34:35], v[1:2], 0.5, v[11:12]
	v_fma_f64 v[1:2], v[1:2], 0.5, -v[11:12]
	v_fma_f64 v[11:12], v[9:10], v[5:6], -v[7:8]
	v_fma_f64 v[7:8], -v[3:4], v[32:33], v[30:31]
	v_fma_f64 v[5:6], v[9:10], v[3:4], v[34:35]
	v_fma_f64 v[1:2], -v[9:10], v[3:4], v[1:2]
	v_fma_f64 v[3:4], -v[3:4], v[32:33], v[11:12]
                                        ; implicit-def: $vgpr9_vgpr10
.LBB0_15:
	s_or_saveexec_b32 s0, s5
	v_mul_i32_i24_e32 v31, 0xffffff70, v78
	v_mul_i32_i24_e32 v30, 0xffffff70, v80
	s_xor_b32 exec_lo, exec_lo, s0
	s_cbranch_execz .LBB0_17
; %bb.16:
	v_mov_b32_e32 v34, 0
	s_waitcnt lgkmcnt(0)
	v_add_f64 v[5:6], v[9:10], v[11:12]
	v_add_f64 v[1:2], v[9:10], -v[11:12]
	v_mov_b32_e32 v7, 0
	v_mov_b32_e32 v8, 0
	ds_read_b64 v[32:33], v34 offset:30728
	v_mov_b32_e32 v3, v7
	v_mov_b32_e32 v4, v8
	s_waitcnt lgkmcnt(0)
	v_xor_b32_e32 v33, 0x80000000, v33
	ds_write_b64 v34, v[32:33] offset:30728
.LBB0_17:
	s_or_b32 exec_lo, exec_lo, s0
	s_waitcnt lgkmcnt(0)
	v_add_co_u32 v9, s0, s1, v67
	v_add_co_ci_u32_e64 v10, s0, s4, v68, s0
	v_add_co_u32 v32, s0, s1, v65
	v_add_co_ci_u32_e64 v33, s0, s4, v66, s0
	global_load_dwordx4 v[9:12], v[9:10], off
	v_add_nc_u32_e32 v31, v134, v31
	v_add_co_u32 v36, s0, s1, v104
	global_load_dwordx4 v[32:35], v[32:33], off
	ds_write_b128 v132, v[5:8]
	ds_write_b128 v29, v[1:4] offset:61440
	ds_read_b128 v[1:4], v31
	ds_read_b128 v[5:8], v29 offset:59392
	v_add_co_ci_u32_e64 v37, s0, s4, v105, s0
	global_load_dwordx4 v[36:39], v[36:37], off
	s_waitcnt lgkmcnt(0)
	v_add_f64 v[40:41], v[1:2], -v[5:6]
	v_add_f64 v[42:43], v[3:4], v[7:8]
	v_add_f64 v[3:4], v[3:4], -v[7:8]
	v_add_f64 v[1:2], v[1:2], v[5:6]
	v_mul_f64 v[7:8], v[40:41], 0.5
	v_mul_f64 v[40:41], v[42:43], 0.5
	;; [unrolled: 1-line block ×3, first 2 shown]
	s_waitcnt vmcnt(2)
	v_mul_f64 v[5:6], v[7:8], v[11:12]
	v_fma_f64 v[42:43], v[40:41], v[11:12], v[3:4]
	v_fma_f64 v[11:12], v[40:41], v[11:12], -v[3:4]
	v_fma_f64 v[44:45], v[1:2], 0.5, v[5:6]
	v_fma_f64 v[5:6], v[1:2], 0.5, -v[5:6]
	v_fma_f64 v[3:4], -v[9:10], v[7:8], v[42:43]
	v_fma_f64 v[7:8], -v[9:10], v[7:8], v[11:12]
	v_fma_f64 v[1:2], v[40:41], v[9:10], v[44:45]
	v_fma_f64 v[5:6], -v[40:41], v[9:10], v[5:6]
	v_add_nc_u32_e32 v44, v136, v30
	v_add_co_u32 v9, s0, s1, v102
	v_add_co_ci_u32_e64 v10, s0, s4, v103, s0
	ds_write_b128 v31, v[1:4]
	ds_write_b128 v29, v[5:8] offset:59392
	ds_read_b128 v[1:4], v44
	ds_read_b128 v[5:8], v29 offset:57344
	global_load_dwordx4 v[9:12], v[9:10], off
	s_waitcnt lgkmcnt(0)
	v_add_f64 v[30:31], v[1:2], -v[5:6]
	v_add_f64 v[40:41], v[3:4], v[7:8]
	v_add_f64 v[3:4], v[3:4], -v[7:8]
	v_add_f64 v[1:2], v[1:2], v[5:6]
	v_mul_f64 v[7:8], v[30:31], 0.5
	v_mul_f64 v[30:31], v[40:41], 0.5
	v_mul_f64 v[3:4], v[3:4], 0.5
	s_waitcnt vmcnt(2)
	v_mul_f64 v[5:6], v[7:8], v[34:35]
	v_fma_f64 v[40:41], v[30:31], v[34:35], v[3:4]
	v_fma_f64 v[34:35], v[30:31], v[34:35], -v[3:4]
	v_fma_f64 v[42:43], v[1:2], 0.5, v[5:6]
	v_fma_f64 v[5:6], v[1:2], 0.5, -v[5:6]
	v_fma_f64 v[3:4], -v[32:33], v[7:8], v[40:41]
	v_fma_f64 v[7:8], -v[32:33], v[7:8], v[34:35]
	v_fma_f64 v[1:2], v[30:31], v[32:33], v[42:43]
	v_fma_f64 v[5:6], -v[30:31], v[32:33], v[5:6]
	v_add_co_u32 v30, s0, s1, v71
	v_add_co_ci_u32_e64 v31, s0, s4, v72, s0
	ds_write_b128 v44, v[1:4]
	ds_write_b128 v29, v[5:8] offset:57344
	ds_read_b128 v[1:4], v109
	ds_read_b128 v[5:8], v29 offset:55296
	global_load_dwordx4 v[30:33], v[30:31], off
	s_waitcnt lgkmcnt(0)
	v_add_f64 v[34:35], v[1:2], -v[5:6]
	v_add_f64 v[40:41], v[3:4], v[7:8]
	v_add_f64 v[3:4], v[3:4], -v[7:8]
	v_add_f64 v[1:2], v[1:2], v[5:6]
	v_mul_f64 v[7:8], v[34:35], 0.5
	v_mul_f64 v[34:35], v[40:41], 0.5
	v_mul_f64 v[3:4], v[3:4], 0.5
	s_waitcnt vmcnt(2)
	v_mul_f64 v[5:6], v[7:8], v[38:39]
	v_fma_f64 v[40:41], v[34:35], v[38:39], v[3:4]
	v_fma_f64 v[38:39], v[34:35], v[38:39], -v[3:4]
	v_fma_f64 v[42:43], v[1:2], 0.5, v[5:6]
	v_fma_f64 v[5:6], v[1:2], 0.5, -v[5:6]
	v_fma_f64 v[3:4], -v[36:37], v[7:8], v[40:41]
	v_fma_f64 v[7:8], -v[36:37], v[7:8], v[38:39]
	v_fma_f64 v[1:2], v[34:35], v[36:37], v[42:43]
	v_fma_f64 v[5:6], -v[34:35], v[36:37], v[5:6]
	;; [unrolled: 25-line block ×3, first 2 shown]
	v_add_co_u32 v9, s0, s1, v27
	v_add_co_ci_u32_e64 v10, s0, s4, v28, s0
	v_add_co_u32 v25, s0, s1, v25
	v_add_co_ci_u32_e64 v26, s0, s4, v26, s0
	;; [unrolled: 2-line block ×3, first 2 shown]
	ds_write_b128 v108, v[1:4]
	ds_write_b128 v29, v[5:8] offset:53248
	ds_read_b128 v[1:4], v137
	ds_read_b128 v[5:8], v29 offset:51200
	global_load_dwordx4 v[9:12], v[9:10], off
	s_waitcnt lgkmcnt(0)
	v_add_f64 v[27:28], v[1:2], -v[5:6]
	v_add_f64 v[38:39], v[3:4], v[7:8]
	v_add_f64 v[3:4], v[3:4], -v[7:8]
	v_add_f64 v[1:2], v[1:2], v[5:6]
	v_mul_f64 v[7:8], v[27:28], 0.5
	v_mul_f64 v[27:28], v[38:39], 0.5
	v_mul_f64 v[3:4], v[3:4], 0.5
	s_waitcnt vmcnt(2)
	v_mul_f64 v[5:6], v[7:8], v[32:33]
	v_fma_f64 v[38:39], v[27:28], v[32:33], v[3:4]
	v_fma_f64 v[32:33], v[27:28], v[32:33], -v[3:4]
	v_fma_f64 v[40:41], v[1:2], 0.5, v[5:6]
	v_fma_f64 v[5:6], v[1:2], 0.5, -v[5:6]
	v_fma_f64 v[3:4], -v[30:31], v[7:8], v[38:39]
	v_fma_f64 v[7:8], -v[30:31], v[7:8], v[32:33]
	v_fma_f64 v[1:2], v[27:28], v[30:31], v[40:41]
	v_fma_f64 v[5:6], -v[27:28], v[30:31], v[5:6]
	ds_write_b128 v137, v[1:4]
	ds_write_b128 v29, v[5:8] offset:51200
	ds_read_b128 v[1:4], v114
	ds_read_b128 v[5:8], v29 offset:49152
	global_load_dwordx4 v[25:28], v[25:26], off
	s_waitcnt lgkmcnt(0)
	v_add_f64 v[30:31], v[1:2], -v[5:6]
	v_add_f64 v[32:33], v[3:4], v[7:8]
	v_add_f64 v[3:4], v[3:4], -v[7:8]
	v_add_f64 v[1:2], v[1:2], v[5:6]
	v_mul_f64 v[7:8], v[30:31], 0.5
	v_mul_f64 v[30:31], v[32:33], 0.5
	v_mul_f64 v[3:4], v[3:4], 0.5
	s_waitcnt vmcnt(2)
	v_mul_f64 v[5:6], v[7:8], v[36:37]
	v_fma_f64 v[32:33], v[30:31], v[36:37], v[3:4]
	v_fma_f64 v[36:37], v[30:31], v[36:37], -v[3:4]
	v_fma_f64 v[38:39], v[1:2], 0.5, v[5:6]
	v_fma_f64 v[5:6], v[1:2], 0.5, -v[5:6]
	v_fma_f64 v[3:4], -v[34:35], v[7:8], v[32:33]
	v_fma_f64 v[7:8], -v[34:35], v[7:8], v[36:37]
	v_fma_f64 v[1:2], v[30:31], v[34:35], v[38:39]
	v_fma_f64 v[5:6], -v[30:31], v[34:35], v[5:6]
	ds_write_b128 v114, v[1:4]
	ds_write_b128 v29, v[5:8] offset:49152
	ds_read_b128 v[1:4], v113
	ds_read_b128 v[5:8], v29 offset:47104
	global_load_dwordx4 v[30:33], v[23:24], off
	s_waitcnt lgkmcnt(0)
	v_add_f64 v[23:24], v[1:2], -v[5:6]
	v_add_f64 v[34:35], v[3:4], v[7:8]
	v_add_f64 v[3:4], v[3:4], -v[7:8]
	v_add_f64 v[1:2], v[1:2], v[5:6]
	v_mul_f64 v[7:8], v[23:24], 0.5
	v_mul_f64 v[23:24], v[34:35], 0.5
	v_mul_f64 v[3:4], v[3:4], 0.5
	s_waitcnt vmcnt(2)
	v_mul_f64 v[5:6], v[7:8], v[11:12]
	v_fma_f64 v[34:35], v[23:24], v[11:12], v[3:4]
	v_fma_f64 v[11:12], v[23:24], v[11:12], -v[3:4]
	v_fma_f64 v[36:37], v[1:2], 0.5, v[5:6]
	v_fma_f64 v[5:6], v[1:2], 0.5, -v[5:6]
	v_fma_f64 v[3:4], -v[9:10], v[7:8], v[34:35]
	v_fma_f64 v[7:8], -v[9:10], v[7:8], v[11:12]
	v_fma_f64 v[1:2], v[23:24], v[9:10], v[36:37]
	v_fma_f64 v[5:6], -v[23:24], v[9:10], v[5:6]
	v_add_co_u32 v9, s0, s1, v21
	v_add_co_ci_u32_e64 v10, s0, s4, v22, s0
	v_add_co_u32 v19, s0, s1, v19
	v_add_co_ci_u32_e64 v20, s0, s4, v20, s0
	;; [unrolled: 2-line block ×3, first 2 shown]
	ds_write_b128 v113, v[1:4]
	ds_write_b128 v29, v[5:8] offset:47104
	ds_read_b128 v[1:4], v112
	ds_read_b128 v[5:8], v29 offset:45056
	global_load_dwordx4 v[9:12], v[9:10], off
	s_waitcnt lgkmcnt(0)
	v_add_f64 v[21:22], v[1:2], -v[5:6]
	v_add_f64 v[23:24], v[3:4], v[7:8]
	v_add_f64 v[3:4], v[3:4], -v[7:8]
	v_add_f64 v[1:2], v[1:2], v[5:6]
	v_mul_f64 v[7:8], v[21:22], 0.5
	v_mul_f64 v[21:22], v[23:24], 0.5
	v_mul_f64 v[3:4], v[3:4], 0.5
	s_waitcnt vmcnt(2)
	v_mul_f64 v[5:6], v[7:8], v[27:28]
	v_fma_f64 v[23:24], v[21:22], v[27:28], v[3:4]
	v_fma_f64 v[27:28], v[21:22], v[27:28], -v[3:4]
	v_fma_f64 v[34:35], v[1:2], 0.5, v[5:6]
	v_fma_f64 v[5:6], v[1:2], 0.5, -v[5:6]
	v_fma_f64 v[3:4], -v[25:26], v[7:8], v[23:24]
	v_fma_f64 v[7:8], -v[25:26], v[7:8], v[27:28]
	v_fma_f64 v[1:2], v[21:22], v[25:26], v[34:35]
	v_fma_f64 v[5:6], -v[21:22], v[25:26], v[5:6]
	ds_write_b128 v112, v[1:4]
	ds_write_b128 v29, v[5:8] offset:45056
	ds_read_b128 v[1:4], v111
	ds_read_b128 v[5:8], v29 offset:43008
	global_load_dwordx4 v[19:22], v[19:20], off
	s_waitcnt lgkmcnt(0)
	v_add_f64 v[23:24], v[1:2], -v[5:6]
	v_add_f64 v[25:26], v[3:4], v[7:8]
	v_add_f64 v[3:4], v[3:4], -v[7:8]
	v_add_f64 v[1:2], v[1:2], v[5:6]
	v_mul_f64 v[7:8], v[23:24], 0.5
	v_mul_f64 v[23:24], v[25:26], 0.5
	v_mul_f64 v[3:4], v[3:4], 0.5
	s_waitcnt vmcnt(2)
	v_mul_f64 v[5:6], v[7:8], v[32:33]
	v_fma_f64 v[25:26], v[23:24], v[32:33], v[3:4]
	v_fma_f64 v[27:28], v[23:24], v[32:33], -v[3:4]
	v_fma_f64 v[32:33], v[1:2], 0.5, v[5:6]
	v_fma_f64 v[5:6], v[1:2], 0.5, -v[5:6]
	v_fma_f64 v[3:4], -v[30:31], v[7:8], v[25:26]
	v_fma_f64 v[7:8], -v[30:31], v[7:8], v[27:28]
	v_fma_f64 v[1:2], v[23:24], v[30:31], v[32:33]
	v_fma_f64 v[5:6], -v[23:24], v[30:31], v[5:6]
	;; [unrolled: 23-line block ×3, first 2 shown]
	v_add_co_u32 v9, s0, s1, v15
	v_add_co_ci_u32_e64 v10, s0, s4, v16, s0
	v_add_co_u32 v13, s0, s1, v13
	v_add_co_ci_u32_e64 v14, s0, s4, v14, s0
	ds_write_b128 v135, v[1:4]
	ds_write_b128 v29, v[5:8] offset:40960
	ds_read_b128 v[1:4], v110
	ds_read_b128 v[5:8], v29 offset:38912
	global_load_dwordx4 v[9:12], v[9:10], off
	s_waitcnt lgkmcnt(0)
	v_add_f64 v[15:16], v[1:2], -v[5:6]
	v_add_f64 v[17:18], v[3:4], v[7:8]
	v_add_f64 v[3:4], v[3:4], -v[7:8]
	v_add_f64 v[1:2], v[1:2], v[5:6]
	v_mul_f64 v[7:8], v[15:16], 0.5
	v_mul_f64 v[15:16], v[17:18], 0.5
	;; [unrolled: 1-line block ×3, first 2 shown]
	s_waitcnt vmcnt(2)
	v_mul_f64 v[5:6], v[7:8], v[21:22]
	v_fma_f64 v[17:18], v[15:16], v[21:22], v[3:4]
	v_fma_f64 v[21:22], v[15:16], v[21:22], -v[3:4]
	v_fma_f64 v[27:28], v[1:2], 0.5, v[5:6]
	v_fma_f64 v[5:6], v[1:2], 0.5, -v[5:6]
	v_fma_f64 v[3:4], -v[19:20], v[7:8], v[17:18]
	v_fma_f64 v[7:8], -v[19:20], v[7:8], v[21:22]
	v_fma_f64 v[1:2], v[15:16], v[19:20], v[27:28]
	v_fma_f64 v[5:6], -v[15:16], v[19:20], v[5:6]
	ds_write_b128 v110, v[1:4]
	ds_write_b128 v29, v[5:8] offset:38912
	ds_read_b128 v[1:4], v107
	ds_read_b128 v[5:8], v29 offset:36864
	global_load_dwordx4 v[13:16], v[13:14], off
	s_waitcnt lgkmcnt(0)
	v_add_f64 v[17:18], v[1:2], -v[5:6]
	v_add_f64 v[19:20], v[3:4], v[7:8]
	v_add_f64 v[3:4], v[3:4], -v[7:8]
	v_add_f64 v[1:2], v[1:2], v[5:6]
	v_mul_f64 v[7:8], v[17:18], 0.5
	v_mul_f64 v[17:18], v[19:20], 0.5
	;; [unrolled: 1-line block ×3, first 2 shown]
	s_waitcnt vmcnt(2)
	v_mul_f64 v[5:6], v[7:8], v[25:26]
	v_fma_f64 v[19:20], v[17:18], v[25:26], v[3:4]
	v_fma_f64 v[21:22], v[17:18], v[25:26], -v[3:4]
	v_fma_f64 v[25:26], v[1:2], 0.5, v[5:6]
	v_fma_f64 v[5:6], v[1:2], 0.5, -v[5:6]
	v_fma_f64 v[3:4], -v[23:24], v[7:8], v[19:20]
	v_fma_f64 v[7:8], -v[23:24], v[7:8], v[21:22]
	v_fma_f64 v[1:2], v[17:18], v[23:24], v[25:26]
	v_fma_f64 v[5:6], -v[17:18], v[23:24], v[5:6]
	ds_write_b128 v107, v[1:4]
	ds_write_b128 v29, v[5:8] offset:36864
	ds_read_b128 v[1:4], v106
	ds_read_b128 v[5:8], v29 offset:34816
	s_waitcnt lgkmcnt(0)
	v_add_f64 v[17:18], v[1:2], -v[5:6]
	v_add_f64 v[19:20], v[3:4], v[7:8]
	v_add_f64 v[3:4], v[3:4], -v[7:8]
	v_add_f64 v[1:2], v[1:2], v[5:6]
	v_mul_f64 v[7:8], v[17:18], 0.5
	v_mul_f64 v[17:18], v[19:20], 0.5
	;; [unrolled: 1-line block ×3, first 2 shown]
	s_waitcnt vmcnt(1)
	v_mul_f64 v[5:6], v[7:8], v[11:12]
	v_fma_f64 v[19:20], v[17:18], v[11:12], v[3:4]
	v_fma_f64 v[11:12], v[17:18], v[11:12], -v[3:4]
	v_fma_f64 v[21:22], v[1:2], 0.5, v[5:6]
	v_fma_f64 v[5:6], v[1:2], 0.5, -v[5:6]
	v_fma_f64 v[3:4], -v[9:10], v[7:8], v[19:20]
	v_fma_f64 v[7:8], -v[9:10], v[7:8], v[11:12]
	v_fma_f64 v[1:2], v[17:18], v[9:10], v[21:22]
	v_fma_f64 v[5:6], -v[17:18], v[9:10], v[5:6]
	ds_write_b128 v106, v[1:4]
	ds_write_b128 v29, v[5:8] offset:34816
	ds_read_b128 v[1:4], v73
	ds_read_b128 v[5:8], v29 offset:32768
	s_waitcnt lgkmcnt(0)
	v_add_f64 v[9:10], v[1:2], -v[5:6]
	v_add_f64 v[11:12], v[3:4], v[7:8]
	v_add_f64 v[3:4], v[3:4], -v[7:8]
	v_add_f64 v[1:2], v[1:2], v[5:6]
	v_mul_f64 v[7:8], v[9:10], 0.5
	v_mul_f64 v[9:10], v[11:12], 0.5
	;; [unrolled: 1-line block ×3, first 2 shown]
	s_waitcnt vmcnt(0)
	v_mul_f64 v[5:6], v[7:8], v[15:16]
	v_fma_f64 v[11:12], v[9:10], v[15:16], v[3:4]
	v_fma_f64 v[15:16], v[9:10], v[15:16], -v[3:4]
	v_fma_f64 v[17:18], v[1:2], 0.5, v[5:6]
	v_fma_f64 v[5:6], v[1:2], 0.5, -v[5:6]
	v_fma_f64 v[3:4], -v[13:14], v[7:8], v[11:12]
	v_fma_f64 v[7:8], -v[13:14], v[7:8], v[15:16]
	v_fma_f64 v[1:2], v[9:10], v[13:14], v[17:18]
	v_fma_f64 v[5:6], -v[9:10], v[13:14], v[5:6]
	ds_write_b128 v73, v[1:4]
	ds_write_b128 v29, v[5:8] offset:32768
	s_waitcnt lgkmcnt(0)
	s_barrier
	buffer_gl0_inv
	s_and_saveexec_b32 s0, vcc_lo
	s_cbranch_execz .LBB0_20
; %bb.18:
	v_mul_lo_u32 v1, s3, v76
	v_mul_lo_u32 v4, s2, v77
	v_mad_u64_u32 v[2:3], null, s2, v76, 0
	v_lshl_add_u32 v30, v0, 4, 0
	v_lshlrev_b64 v[12:13], 4, v[74:75]
	v_add_nc_u32_e32 v14, 0x80, v0
	v_add_nc_u32_e32 v26, 0x280, v0
	;; [unrolled: 1-line block ×3, first 2 shown]
	v_add3_u32 v3, v3, v4, v1
	v_mov_b32_e32 v1, 0
	ds_read_b128 v[4:7], v30
	ds_read_b128 v[8:11], v30 offset:2048
	v_lshlrev_b64 v[2:3], 4, v[2:3]
	v_mov_b32_e32 v15, v1
	v_lshlrev_b64 v[16:17], 4, v[0:1]
	v_mov_b32_e32 v27, v1
	v_mov_b32_e32 v29, v1
	v_add_co_u32 v2, vcc_lo, s10, v2
	v_add_co_ci_u32_e32 v3, vcc_lo, s11, v3, vcc_lo
	v_lshlrev_b64 v[26:27], 4, v[26:27]
	v_add_co_u32 v2, vcc_lo, v2, v12
	v_add_co_ci_u32_e32 v3, vcc_lo, v3, v13, vcc_lo
	v_lshlrev_b64 v[12:13], 4, v[14:15]
	v_add_co_u32 v14, vcc_lo, v2, v16
	v_add_co_ci_u32_e32 v15, vcc_lo, v3, v17, vcc_lo
	v_add_nc_u32_e32 v16, 0x100, v0
	v_add_co_u32 v12, vcc_lo, v2, v12
	v_mov_b32_e32 v17, v1
	v_add_co_ci_u32_e32 v13, vcc_lo, v3, v13, vcc_lo
	s_waitcnt lgkmcnt(1)
	global_store_dwordx4 v[14:15], v[4:7], off
	s_waitcnt lgkmcnt(0)
	global_store_dwordx4 v[12:13], v[8:11], off
	v_lshlrev_b64 v[4:5], 4, v[16:17]
	v_add_nc_u32_e32 v12, 0x180, v0
	v_mov_b32_e32 v13, v1
	v_add_nc_u32_e32 v14, 0x200, v0
	v_mov_b32_e32 v15, v1
	v_add_co_u32 v20, vcc_lo, v2, v4
	v_add_co_ci_u32_e32 v21, vcc_lo, v3, v5, vcc_lo
	ds_read_b128 v[4:7], v30 offset:4096
	ds_read_b128 v[8:11], v30 offset:6144
	v_lshlrev_b64 v[22:23], 4, v[12:13]
	v_lshlrev_b64 v[24:25], 4, v[14:15]
	ds_read_b128 v[12:15], v30 offset:8192
	ds_read_b128 v[16:19], v30 offset:10240
	v_add_co_u32 v22, vcc_lo, v2, v22
	v_add_co_ci_u32_e32 v23, vcc_lo, v3, v23, vcc_lo
	v_add_co_u32 v24, vcc_lo, v2, v24
	v_add_co_ci_u32_e32 v25, vcc_lo, v3, v25, vcc_lo
	;; [unrolled: 2-line block ×3, first 2 shown]
	s_waitcnt lgkmcnt(3)
	global_store_dwordx4 v[20:21], v[4:7], off
	s_waitcnt lgkmcnt(2)
	global_store_dwordx4 v[22:23], v[8:11], off
	s_waitcnt lgkmcnt(1)
	global_store_dwordx4 v[24:25], v[12:15], off
	s_waitcnt lgkmcnt(0)
	global_store_dwordx4 v[26:27], v[16:19], off
	v_lshlrev_b64 v[4:5], 4, v[28:29]
	v_add_nc_u32_e32 v12, 0x380, v0
	v_mov_b32_e32 v13, v1
	v_add_nc_u32_e32 v14, 0x400, v0
	v_mov_b32_e32 v15, v1
	v_add_nc_u32_e32 v26, 0x480, v0
	v_add_co_u32 v20, vcc_lo, v2, v4
	v_add_co_ci_u32_e32 v21, vcc_lo, v3, v5, vcc_lo
	ds_read_b128 v[4:7], v30 offset:12288
	ds_read_b128 v[8:11], v30 offset:14336
	v_lshlrev_b64 v[22:23], 4, v[12:13]
	v_lshlrev_b64 v[24:25], 4, v[14:15]
	ds_read_b128 v[12:15], v30 offset:16384
	ds_read_b128 v[16:19], v30 offset:18432
	v_mov_b32_e32 v27, v1
	v_add_nc_u32_e32 v28, 0x500, v0
	v_add_co_u32 v22, vcc_lo, v2, v22
	v_lshlrev_b64 v[26:27], 4, v[26:27]
	v_add_co_ci_u32_e32 v23, vcc_lo, v3, v23, vcc_lo
	v_add_co_u32 v24, vcc_lo, v2, v24
	v_add_co_ci_u32_e32 v25, vcc_lo, v3, v25, vcc_lo
	v_add_co_u32 v26, vcc_lo, v2, v26
	v_add_co_ci_u32_e32 v27, vcc_lo, v3, v27, vcc_lo
	s_waitcnt lgkmcnt(3)
	global_store_dwordx4 v[20:21], v[4:7], off
	s_waitcnt lgkmcnt(2)
	global_store_dwordx4 v[22:23], v[8:11], off
	s_waitcnt lgkmcnt(1)
	global_store_dwordx4 v[24:25], v[12:15], off
	s_waitcnt lgkmcnt(0)
	global_store_dwordx4 v[26:27], v[16:19], off
	v_lshlrev_b64 v[4:5], 4, v[28:29]
	v_add_nc_u32_e32 v12, 0x580, v0
	v_mov_b32_e32 v13, v1
	v_add_nc_u32_e32 v14, 0x600, v0
	v_mov_b32_e32 v15, v1
	v_add_nc_u32_e32 v26, 0x680, v0
	v_add_co_u32 v20, vcc_lo, v2, v4
	v_add_co_ci_u32_e32 v21, vcc_lo, v3, v5, vcc_lo
	ds_read_b128 v[4:7], v30 offset:20480
	ds_read_b128 v[8:11], v30 offset:22528
	v_lshlrev_b64 v[22:23], 4, v[12:13]
	v_lshlrev_b64 v[24:25], 4, v[14:15]
	ds_read_b128 v[12:15], v30 offset:24576
	ds_read_b128 v[16:19], v30 offset:26624
	v_mov_b32_e32 v27, v1
	v_add_nc_u32_e32 v28, 0x700, v0
	v_add_co_u32 v22, vcc_lo, v2, v22
	v_lshlrev_b64 v[26:27], 4, v[26:27]
	v_add_co_ci_u32_e32 v23, vcc_lo, v3, v23, vcc_lo
	v_add_co_u32 v24, vcc_lo, v2, v24
	v_add_co_ci_u32_e32 v25, vcc_lo, v3, v25, vcc_lo
	v_add_co_u32 v26, vcc_lo, v2, v26
	v_add_co_ci_u32_e32 v27, vcc_lo, v3, v27, vcc_lo
	;; [unrolled: 31-line block ×5, first 2 shown]
	s_waitcnt lgkmcnt(3)
	global_store_dwordx4 v[20:21], v[4:7], off
	s_waitcnt lgkmcnt(2)
	global_store_dwordx4 v[22:23], v[8:11], off
	;; [unrolled: 2-line block ×4, first 2 shown]
	v_lshlrev_b64 v[4:5], 4, v[28:29]
	v_add_nc_u32_e32 v12, 0xd80, v0
	v_mov_b32_e32 v13, v1
	v_add_nc_u32_e32 v14, 0xe00, v0
	v_mov_b32_e32 v15, v1
	v_add_nc_u32_e32 v26, 0xe80, v0
	v_add_co_u32 v20, vcc_lo, v2, v4
	v_add_co_ci_u32_e32 v21, vcc_lo, v3, v5, vcc_lo
	ds_read_b128 v[4:7], v30 offset:53248
	ds_read_b128 v[8:11], v30 offset:55296
	v_lshlrev_b64 v[22:23], 4, v[12:13]
	v_lshlrev_b64 v[24:25], 4, v[14:15]
	ds_read_b128 v[12:15], v30 offset:57344
	ds_read_b128 v[16:19], v30 offset:59392
	v_mov_b32_e32 v27, v1
	v_add_co_u32 v22, vcc_lo, v2, v22
	v_lshlrev_b64 v[26:27], 4, v[26:27]
	v_add_co_ci_u32_e32 v23, vcc_lo, v3, v23, vcc_lo
	v_add_co_u32 v24, vcc_lo, v2, v24
	v_add_co_ci_u32_e32 v25, vcc_lo, v3, v25, vcc_lo
	v_add_co_u32 v26, vcc_lo, v2, v26
	v_add_co_ci_u32_e32 v27, vcc_lo, v3, v27, vcc_lo
	v_cmp_eq_u32_e32 vcc_lo, 0x7f, v0
	s_waitcnt lgkmcnt(3)
	global_store_dwordx4 v[20:21], v[4:7], off
	s_waitcnt lgkmcnt(2)
	global_store_dwordx4 v[22:23], v[8:11], off
	;; [unrolled: 2-line block ×4, first 2 shown]
	s_and_b32 exec_lo, exec_lo, vcc_lo
	s_cbranch_execz .LBB0_20
; %bb.19:
	ds_read_b128 v[4:7], v1 offset:61440
	v_add_co_u32 v0, vcc_lo, 0xf000, v2
	v_add_co_ci_u32_e32 v1, vcc_lo, 0, v3, vcc_lo
	s_waitcnt lgkmcnt(0)
	global_store_dwordx4 v[0:1], v[4:7], off
.LBB0_20:
	s_endpgm
	.section	.rodata,"a",@progbits
	.p2align	6, 0x0
	.amdhsa_kernel fft_rtc_back_len3840_factors_10_6_2_2_2_2_2_2_wgs_128_tpt_128_halfLds_dp_op_CI_CI_unitstride_sbrr_R2C_dirReg
		.amdhsa_group_segment_fixed_size 0
		.amdhsa_private_segment_fixed_size 0
		.amdhsa_kernarg_size 104
		.amdhsa_user_sgpr_count 6
		.amdhsa_user_sgpr_private_segment_buffer 1
		.amdhsa_user_sgpr_dispatch_ptr 0
		.amdhsa_user_sgpr_queue_ptr 0
		.amdhsa_user_sgpr_kernarg_segment_ptr 1
		.amdhsa_user_sgpr_dispatch_id 0
		.amdhsa_user_sgpr_flat_scratch_init 0
		.amdhsa_user_sgpr_private_segment_size 0
		.amdhsa_wavefront_size32 1
		.amdhsa_uses_dynamic_stack 0
		.amdhsa_system_sgpr_private_segment_wavefront_offset 0
		.amdhsa_system_sgpr_workgroup_id_x 1
		.amdhsa_system_sgpr_workgroup_id_y 0
		.amdhsa_system_sgpr_workgroup_id_z 0
		.amdhsa_system_sgpr_workgroup_info 0
		.amdhsa_system_vgpr_workitem_id 0
		.amdhsa_next_free_vgpr 250
		.amdhsa_next_free_sgpr 27
		.amdhsa_reserve_vcc 1
		.amdhsa_reserve_flat_scratch 0
		.amdhsa_float_round_mode_32 0
		.amdhsa_float_round_mode_16_64 0
		.amdhsa_float_denorm_mode_32 3
		.amdhsa_float_denorm_mode_16_64 3
		.amdhsa_dx10_clamp 1
		.amdhsa_ieee_mode 1
		.amdhsa_fp16_overflow 0
		.amdhsa_workgroup_processor_mode 1
		.amdhsa_memory_ordered 1
		.amdhsa_forward_progress 0
		.amdhsa_shared_vgpr_count 0
		.amdhsa_exception_fp_ieee_invalid_op 0
		.amdhsa_exception_fp_denorm_src 0
		.amdhsa_exception_fp_ieee_div_zero 0
		.amdhsa_exception_fp_ieee_overflow 0
		.amdhsa_exception_fp_ieee_underflow 0
		.amdhsa_exception_fp_ieee_inexact 0
		.amdhsa_exception_int_div_zero 0
	.end_amdhsa_kernel
	.text
.Lfunc_end0:
	.size	fft_rtc_back_len3840_factors_10_6_2_2_2_2_2_2_wgs_128_tpt_128_halfLds_dp_op_CI_CI_unitstride_sbrr_R2C_dirReg, .Lfunc_end0-fft_rtc_back_len3840_factors_10_6_2_2_2_2_2_2_wgs_128_tpt_128_halfLds_dp_op_CI_CI_unitstride_sbrr_R2C_dirReg
                                        ; -- End function
	.section	.AMDGPU.csdata,"",@progbits
; Kernel info:
; codeLenInByte = 30804
; NumSgprs: 29
; NumVgprs: 250
; ScratchSize: 0
; MemoryBound: 0
; FloatMode: 240
; IeeeMode: 1
; LDSByteSize: 0 bytes/workgroup (compile time only)
; SGPRBlocks: 3
; VGPRBlocks: 31
; NumSGPRsForWavesPerEU: 29
; NumVGPRsForWavesPerEU: 250
; Occupancy: 4
; WaveLimiterHint : 1
; COMPUTE_PGM_RSRC2:SCRATCH_EN: 0
; COMPUTE_PGM_RSRC2:USER_SGPR: 6
; COMPUTE_PGM_RSRC2:TRAP_HANDLER: 0
; COMPUTE_PGM_RSRC2:TGID_X_EN: 1
; COMPUTE_PGM_RSRC2:TGID_Y_EN: 0
; COMPUTE_PGM_RSRC2:TGID_Z_EN: 0
; COMPUTE_PGM_RSRC2:TIDIG_COMP_CNT: 0
	.text
	.p2alignl 6, 3214868480
	.fill 48, 4, 3214868480
	.type	__hip_cuid_a509ebcb813c085,@object ; @__hip_cuid_a509ebcb813c085
	.section	.bss,"aw",@nobits
	.globl	__hip_cuid_a509ebcb813c085
__hip_cuid_a509ebcb813c085:
	.byte	0                               ; 0x0
	.size	__hip_cuid_a509ebcb813c085, 1

	.ident	"AMD clang version 19.0.0git (https://github.com/RadeonOpenCompute/llvm-project roc-6.4.0 25133 c7fe45cf4b819c5991fe208aaa96edf142730f1d)"
	.section	".note.GNU-stack","",@progbits
	.addrsig
	.addrsig_sym __hip_cuid_a509ebcb813c085
	.amdgpu_metadata
---
amdhsa.kernels:
  - .args:
      - .actual_access:  read_only
        .address_space:  global
        .offset:         0
        .size:           8
        .value_kind:     global_buffer
      - .offset:         8
        .size:           8
        .value_kind:     by_value
      - .actual_access:  read_only
        .address_space:  global
        .offset:         16
        .size:           8
        .value_kind:     global_buffer
      - .actual_access:  read_only
        .address_space:  global
        .offset:         24
        .size:           8
        .value_kind:     global_buffer
      - .actual_access:  read_only
        .address_space:  global
        .offset:         32
        .size:           8
        .value_kind:     global_buffer
      - .offset:         40
        .size:           8
        .value_kind:     by_value
      - .actual_access:  read_only
        .address_space:  global
        .offset:         48
        .size:           8
        .value_kind:     global_buffer
      - .actual_access:  read_only
        .address_space:  global
        .offset:         56
        .size:           8
        .value_kind:     global_buffer
      - .offset:         64
        .size:           4
        .value_kind:     by_value
      - .actual_access:  read_only
        .address_space:  global
        .offset:         72
        .size:           8
        .value_kind:     global_buffer
      - .actual_access:  read_only
        .address_space:  global
        .offset:         80
        .size:           8
        .value_kind:     global_buffer
      - .actual_access:  read_only
        .address_space:  global
        .offset:         88
        .size:           8
        .value_kind:     global_buffer
      - .actual_access:  write_only
        .address_space:  global
        .offset:         96
        .size:           8
        .value_kind:     global_buffer
    .group_segment_fixed_size: 0
    .kernarg_segment_align: 8
    .kernarg_segment_size: 104
    .language:       OpenCL C
    .language_version:
      - 2
      - 0
    .max_flat_workgroup_size: 128
    .name:           fft_rtc_back_len3840_factors_10_6_2_2_2_2_2_2_wgs_128_tpt_128_halfLds_dp_op_CI_CI_unitstride_sbrr_R2C_dirReg
    .private_segment_fixed_size: 0
    .sgpr_count:     29
    .sgpr_spill_count: 0
    .symbol:         fft_rtc_back_len3840_factors_10_6_2_2_2_2_2_2_wgs_128_tpt_128_halfLds_dp_op_CI_CI_unitstride_sbrr_R2C_dirReg.kd
    .uniform_work_group_size: 1
    .uses_dynamic_stack: false
    .vgpr_count:     250
    .vgpr_spill_count: 0
    .wavefront_size: 32
    .workgroup_processor_mode: 1
amdhsa.target:   amdgcn-amd-amdhsa--gfx1030
amdhsa.version:
  - 1
  - 2
...

	.end_amdgpu_metadata
